;; amdgpu-corpus repo=ROCm/rocFFT kind=compiled arch=gfx1201 opt=O3
	.text
	.amdgcn_target "amdgcn-amd-amdhsa--gfx1201"
	.amdhsa_code_object_version 6
	.protected	bluestein_single_fwd_len1287_dim1_half_op_CI_CI ; -- Begin function bluestein_single_fwd_len1287_dim1_half_op_CI_CI
	.globl	bluestein_single_fwd_len1287_dim1_half_op_CI_CI
	.p2align	8
	.type	bluestein_single_fwd_len1287_dim1_half_op_CI_CI,@function
bluestein_single_fwd_len1287_dim1_half_op_CI_CI: ; @bluestein_single_fwd_len1287_dim1_half_op_CI_CI
; %bb.0:
	s_load_b128 s[8:11], s[0:1], 0x28
	v_mul_u32_u24_e32 v1, 0x231, v0
	s_mov_b32 s2, exec_lo
	v_mov_b32_e32 v23, 0
	s_delay_alu instid0(VALU_DEP_2) | instskip(NEXT) | instid1(VALU_DEP_1)
	v_lshrrev_b32_e32 v1, 16, v1
	v_add_nc_u32_e32 v22, ttmp9, v1
	s_wait_kmcnt 0x0
	s_delay_alu instid0(VALU_DEP_1)
	v_cmpx_gt_u64_e64 s[8:9], v[22:23]
	s_cbranch_execz .LBB0_31
; %bb.1:
	s_clause 0x1
	s_load_b128 s[4:7], s[0:1], 0x18
	s_load_b64 s[16:17], s[0:1], 0x0
	v_mul_lo_u16 v1, 0x75, v1
	s_movk_i32 s2, 0xfd1b
	s_mov_b32 s3, -1
	s_delay_alu instid0(VALU_DEP_1) | instskip(NEXT) | instid1(VALU_DEP_1)
	v_sub_nc_u16 v7, v0, v1
	v_and_b32_e32 v57, 0xffff, v7
	s_delay_alu instid0(VALU_DEP_1)
	v_lshlrev_b32_e32 v45, 2, v57
	s_wait_kmcnt 0x0
	s_load_b128 s[12:15], s[4:5], 0x0
	s_clause 0x8
	global_load_b32 v62, v45, s[16:17]
	global_load_b32 v56, v45, s[16:17] offset:468
	global_load_b32 v54, v45, s[16:17] offset:2184
	;; [unrolled: 1-line block ×8, first 2 shown]
	s_wait_kmcnt 0x0
	v_mad_co_u64_u32 v[0:1], null, s14, v22, 0
	v_mad_co_u64_u32 v[2:3], null, s12, v57, 0
	s_mul_u64 s[4:5], s[12:13], 0x1ad
	s_mul_u64 s[2:3], s[12:13], s[2:3]
	v_add_co_u32 v20, s12, s16, v45
	s_lshl_b64 s[2:3], s[2:3], 2
	s_wait_alu 0xf1ff
	v_add_co_ci_u32_e64 v21, null, s17, 0, s12
	s_delay_alu instid0(VALU_DEP_3) | instskip(NEXT) | instid1(VALU_DEP_1)
	v_mad_co_u64_u32 v[4:5], null, s15, v22, v[1:2]
	v_mad_co_u64_u32 v[5:6], null, s13, v57, v[3:4]
	v_mov_b32_e32 v1, v4
	s_delay_alu instid0(VALU_DEP_1) | instskip(NEXT) | instid1(VALU_DEP_3)
	v_lshlrev_b64_e32 v[0:1], 2, v[0:1]
	v_mov_b32_e32 v3, v5
	s_delay_alu instid0(VALU_DEP_2) | instskip(NEXT) | instid1(VALU_DEP_2)
	v_add_co_u32 v0, vcc_lo, s10, v0
	v_lshlrev_b64_e32 v[2:3], 2, v[2:3]
	s_delay_alu instid0(VALU_DEP_4) | instskip(SKIP_1) | instid1(VALU_DEP_2)
	v_add_co_ci_u32_e32 v1, vcc_lo, s11, v1, vcc_lo
	s_lshl_b64 s[10:11], s[4:5], 2
	v_add_co_u32 v0, vcc_lo, v0, v2
	s_wait_alu 0xfffd
	s_delay_alu instid0(VALU_DEP_2)
	v_add_co_ci_u32_e32 v1, vcc_lo, v1, v3, vcc_lo
	global_load_b32 v6, v[0:1], off
	s_wait_alu 0xfffe
	v_add_co_u32 v0, vcc_lo, v0, s10
	s_wait_alu 0xfffd
	v_add_co_ci_u32_e32 v1, vcc_lo, s11, v1, vcc_lo
	s_delay_alu instid0(VALU_DEP_2) | instskip(SKIP_1) | instid1(VALU_DEP_2)
	v_add_co_u32 v2, vcc_lo, v0, s10
	s_wait_alu 0xfffd
	v_add_co_ci_u32_e32 v3, vcc_lo, s11, v1, vcc_lo
	s_clause 0x1
	global_load_b32 v8, v[0:1], off
	global_load_b32 v9, v[2:3], off
	v_add_co_u32 v0, vcc_lo, v2, s2
	s_wait_alu 0xfffd
	v_add_co_ci_u32_e32 v1, vcc_lo, s3, v3, vcc_lo
	s_delay_alu instid0(VALU_DEP_2) | instskip(SKIP_1) | instid1(VALU_DEP_2)
	v_add_co_u32 v2, vcc_lo, v0, s10
	s_wait_alu 0xfffd
	v_add_co_ci_u32_e32 v3, vcc_lo, s11, v1, vcc_lo
	s_clause 0x1
	global_load_b32 v10, v[0:1], off
	global_load_b32 v11, v[2:3], off
	v_add_co_u32 v0, vcc_lo, v2, s10
	s_wait_alu 0xfffd
	v_add_co_ci_u32_e32 v1, vcc_lo, s11, v3, vcc_lo
	s_delay_alu instid0(VALU_DEP_2) | instskip(SKIP_1) | instid1(VALU_DEP_2)
	v_add_co_u32 v2, vcc_lo, v0, s2
	s_wait_alu 0xfffd
	v_add_co_ci_u32_e32 v3, vcc_lo, s3, v1, vcc_lo
	global_load_b32 v12, v[0:1], off
	v_add_co_u32 v4, vcc_lo, v2, s10
	s_wait_alu 0xfffd
	v_add_co_ci_u32_e32 v5, vcc_lo, s11, v3, vcc_lo
	global_load_b32 v3, v[2:3], off
	;; [unrolled: 4-line block ×3, first 2 shown]
	global_load_b32 v5, v[0:1], off
	s_load_b64 s[8:9], s[0:1], 0x38
	s_load_b128 s[4:7], s[6:7], 0x0
	v_add_nc_u32_e32 v2, 0x800, v45
	v_cmp_gt_u16_e32 vcc_lo, 0x4e, v7
	s_wait_loadcnt 0x11
	v_lshrrev_b32_e32 v64, 16, v62
	s_wait_loadcnt 0x10
	v_lshrrev_b32_e32 v58, 16, v56
	;; [unrolled: 2-line block ×4, first 2 shown]
	v_lshrrev_b32_e32 v55, 16, v54
	v_lshrrev_b32_e32 v53, 16, v52
	s_wait_loadcnt 0xa
	v_lshrrev_b32_e32 v51, 16, v50
	v_lshrrev_b32_e32 v49, 16, v48
	s_wait_loadcnt 0x9
	v_lshrrev_b32_e32 v47, 16, v46
	s_wait_loadcnt 0x8
	v_lshrrev_b32_e32 v13, 16, v6
	v_mul_f16_e32 v14, v64, v6
	s_delay_alu instid0(VALU_DEP_2) | instskip(NEXT) | instid1(VALU_DEP_2)
	v_mul_f16_e32 v15, v64, v13
	v_fma_f16 v13, v62, v13, -v14
	s_wait_loadcnt 0x7
	v_lshrrev_b32_e32 v16, 16, v8
	v_mul_f16_e32 v17, v63, v8
	v_fmac_f16_e32 v15, v62, v6
	s_wait_loadcnt 0x6
	v_lshrrev_b32_e32 v14, 16, v9
	v_mul_f16_e32 v6, v63, v16
	v_fma_f16 v16, v61, v16, -v17
	v_mul_f16_e32 v17, v60, v9
	v_pack_b32_f16 v13, v15, v13
	s_delay_alu instid0(VALU_DEP_4) | instskip(SKIP_1) | instid1(VALU_DEP_4)
	v_fmac_f16_e32 v6, v61, v8
	v_mul_f16_e32 v8, v60, v14
	v_fma_f16 v14, v59, v14, -v17
	s_wait_loadcnt 0x5
	v_lshrrev_b32_e32 v15, 16, v10
	v_pack_b32_f16 v6, v6, v16
	v_fmac_f16_e32 v8, v59, v9
	s_wait_loadcnt 0x4
	v_lshrrev_b32_e32 v16, 16, v11
	v_mul_f16_e32 v18, v55, v11
	v_mul_f16_e32 v9, v58, v15
	;; [unrolled: 1-line block ×3, first 2 shown]
	v_pack_b32_f16 v8, v8, v14
	ds_store_b32 v45, v6 offset:1716
	ds_store_b32 v45, v8 offset:3432
	v_fmac_f16_e32 v9, v56, v10
	v_mul_f16_e32 v10, v55, v16
	v_fma_f16 v14, v54, v16, -v18
	s_wait_loadcnt 0x3
	v_lshrrev_b32_e32 v16, 16, v12
	v_fma_f16 v15, v56, v15, -v17
	v_mul_f16_e32 v17, v53, v12
	v_fmac_f16_e32 v10, v54, v11
	s_delay_alu instid0(VALU_DEP_4) | instskip(NEXT) | instid1(VALU_DEP_4)
	v_mul_f16_e32 v8, v53, v16
	v_pack_b32_f16 v6, v9, v15
	s_wait_loadcnt 0x2
	v_lshrrev_b32_e32 v9, 16, v3
	v_mul_f16_e32 v15, v51, v3
	v_fma_f16 v11, v52, v16, -v17
	v_fmac_f16_e32 v8, v52, v12
	s_wait_loadcnt 0x1
	v_lshrrev_b32_e32 v12, 16, v4
	s_wait_loadcnt 0x0
	v_lshrrev_b32_e32 v17, 16, v5
	v_mul_f16_e32 v16, v51, v9
	v_fma_f16 v9, v50, v9, -v15
	v_mul_f16_e32 v15, v49, v4
	v_mul_f16_e32 v18, v49, v12
	;; [unrolled: 1-line block ×4, first 2 shown]
	v_fmac_f16_e32 v16, v50, v3
	v_fma_f16 v3, v48, v12, -v15
	v_fmac_f16_e32 v18, v48, v4
	v_fma_f16 v4, v46, v17, -v19
	v_fmac_f16_e32 v23, v46, v5
	v_pack_b32_f16 v9, v16, v9
	v_pack_b32_f16 v5, v10, v14
	;; [unrolled: 1-line block ×5, first 2 shown]
	v_add_nc_u32_e32 v10, 0xe00, v45
	ds_store_2addr_b32 v45, v13, v6 offset1:117
	ds_store_b32 v45, v9 offset:936
	ds_store_2addr_b32 v2, v5, v3 offset0:34 offset1:151
	ds_store_2addr_b32 v10, v8, v4 offset0:79 offset1:196
	s_and_saveexec_b32 s12, vcc_lo
	s_cbranch_execz .LBB0_3
; %bb.2:
	v_add_co_u32 v0, s2, v0, s2
	s_wait_alu 0xf1ff
	v_add_co_ci_u32_e64 v1, s2, s3, v1, s2
	global_load_b32 v7, v[20:21], off offset:1404
	v_add_co_u32 v3, s2, v0, s10
	s_wait_alu 0xf1ff
	v_add_co_ci_u32_e64 v4, s2, s11, v1, s2
	s_delay_alu instid0(VALU_DEP_2) | instskip(SKIP_1) | instid1(VALU_DEP_2)
	v_add_co_u32 v5, s2, v3, s10
	s_wait_alu 0xf1ff
	v_add_co_ci_u32_e64 v6, s2, s11, v4, s2
	global_load_b32 v8, v[20:21], off offset:3120
	global_load_b32 v0, v[0:1], off
	global_load_b32 v1, v[20:21], off offset:4836
	global_load_b32 v3, v[3:4], off
	global_load_b32 v4, v[5:6], off
	s_wait_loadcnt 0x5
	v_lshrrev_b32_e32 v5, 16, v7
	s_wait_loadcnt 0x4
	v_lshrrev_b32_e32 v6, 16, v8
	s_wait_loadcnt 0x3
	v_lshrrev_b32_e32 v9, 16, v0
	v_mul_f16_e32 v10, v5, v0
	s_wait_loadcnt 0x1
	v_lshrrev_b32_e32 v12, 16, v3
	v_lshrrev_b32_e32 v11, 16, v1
	s_wait_loadcnt 0x0
	v_lshrrev_b32_e32 v13, 16, v4
	v_mul_f16_e32 v5, v5, v9
	v_fma_f16 v9, v7, v9, -v10
	v_mul_f16_e32 v10, v6, v3
	v_mul_f16_e32 v6, v6, v12
	;; [unrolled: 1-line block ×4, first 2 shown]
	v_fmac_f16_e32 v5, v7, v0
	v_fma_f16 v0, v8, v12, -v10
	v_fmac_f16_e32 v6, v8, v3
	v_fmac_f16_e32 v14, v1, v4
	v_fma_f16 v1, v1, v13, -v11
	v_pack_b32_f16 v3, v5, v9
	s_delay_alu instid0(VALU_DEP_4) | instskip(NEXT) | instid1(VALU_DEP_3)
	v_pack_b32_f16 v0, v6, v0
	v_pack_b32_f16 v1, v14, v1
	ds_store_b32 v45, v3 offset:1404
	ds_store_b32 v45, v0 offset:3120
	;; [unrolled: 1-line block ×3, first 2 shown]
.LBB0_3:
	s_wait_alu 0xfffe
	s_or_b32 exec_lo, exec_lo, s12
	v_add_nc_u32_e32 v0, 0x300, v45
	v_add_nc_u32_e32 v3, 0xc00, v45
	global_wb scope:SCOPE_SE
	s_wait_dscnt 0x0
	s_wait_kmcnt 0x0
	s_barrier_signal -1
	s_barrier_wait -1
	global_inv scope:SCOPE_SE
	ds_load_2addr_b32 v[6:7], v45 offset1:117
	ds_load_2addr_b32 v[0:1], v0 offset0:42 offset1:237
	ds_load_2addr_b32 v[4:5], v3 offset0:90 offset1:207
	;; [unrolled: 1-line block ×3, first 2 shown]
	ds_load_b32 v9, v45 offset:4368
                                        ; implicit-def: $vgpr10
                                        ; implicit-def: $vgpr11
                                        ; implicit-def: $vgpr8
	s_and_saveexec_b32 s2, vcc_lo
	s_cbranch_execz .LBB0_5
; %bb.4:
	ds_load_b32 v10, v45 offset:1404
	ds_load_b32 v11, v45 offset:3120
	;; [unrolled: 1-line block ×3, first 2 shown]
.LBB0_5:
	s_wait_alu 0xfffe
	s_or_b32 exec_lo, exec_lo, s2
	s_load_b64 s[2:3], s[0:1], 0x8
	v_add_co_u32 v27, s0, 0x75, v57
	s_wait_alu 0xf1ff
	v_add_co_ci_u32_e64 v12, null, 0, 0, s0
	v_add_co_u32 v28, s0, 0xea, v57
	s_wait_alu 0xf1ff
	v_add_co_ci_u32_e64 v12, null, 0, 0, s0
	s_wait_dscnt 0x2
	v_pk_add_f16 v12, v1, v4
	v_pk_add_f16 v13, v1, v4 neg_lo:[0,1] neg_hi:[0,1]
	v_pk_add_f16 v1, v6, v1
	s_wait_dscnt 0x1
	v_pk_add_f16 v14, v2, v5
	v_pk_add_f16 v15, v2, v5 neg_lo:[0,1] neg_hi:[0,1]
	v_pk_fma_f16 v6, v12, 0.5, v6 op_sel_hi:[1,0,1] neg_lo:[1,0,0] neg_hi:[1,0,0]
	v_pk_mul_f16 v16, 0x3aee, v13 op_sel_hi:[0,1]
	v_pk_add_f16 v12, v1, v4
	v_pk_add_f16 v1, v7, v2
	v_pk_fma_f16 v2, v14, 0.5, v7 op_sel_hi:[1,0,1] neg_lo:[1,0,0] neg_hi:[1,0,0]
	v_pk_mul_f16 v4, 0x3aee, v15 op_sel_hi:[0,1]
	v_pk_add_f16 v13, v6, v16 op_sel:[0,1] op_sel_hi:[1,0]
	v_pk_add_f16 v31, v6, v16 op_sel:[0,1] op_sel_hi:[1,0] neg_lo:[0,1] neg_hi:[0,1]
	v_pk_add_f16 v15, v1, v5
	s_wait_dscnt 0x0
	v_pk_add_f16 v1, v3, v9
	v_pk_add_f16 v16, v2, v4 op_sel:[0,1] op_sel_hi:[1,0]
	v_pk_add_f16 v32, v2, v4 op_sel:[0,1] op_sel_hi:[1,0] neg_lo:[0,1] neg_hi:[0,1]
	v_pk_add_f16 v2, v11, v8
	v_pk_add_f16 v4, v11, v8 neg_lo:[0,1] neg_hi:[0,1]
	v_pk_add_f16 v6, v0, v3
	v_pk_fma_f16 v0, v1, 0.5, v0 op_sel_hi:[1,0,1] neg_lo:[1,0,0] neg_hi:[1,0,0]
	v_pk_add_f16 v1, v3, v9 neg_lo:[0,1] neg_hi:[0,1]
	v_mul_lo_u16 v5, v57, 3
	v_pk_add_f16 v3, v10, v11
	v_pk_fma_f16 v2, v2, 0.5, v10 op_sel_hi:[1,0,1] neg_lo:[1,0,0] neg_hi:[1,0,0]
	v_pk_mul_f16 v4, 0x3aee, v4 op_sel_hi:[0,1]
	v_pk_fma_f16 v33, 0x3aee, v1, v0 op_sel:[0,0,1] op_sel_hi:[0,1,0]
	v_pk_fma_f16 v35, 0x3aee, v1, v0 op_sel:[0,0,1] op_sel_hi:[0,1,0] neg_lo:[0,1,0] neg_hi:[0,1,0]
	v_and_b32_e32 v0, 0xffff, v5
	v_add_co_u32 v29, null, 0x15f, v57
	v_pk_add_f16 v26, v3, v8
	v_pk_add_f16 v24, v2, v4 op_sel:[0,1] op_sel_hi:[1,0] neg_lo:[0,1] neg_hi:[0,1]
	v_pk_add_f16 v34, v2, v4 op_sel:[0,1] op_sel_hi:[1,0]
	v_mul_u32_u24_e32 v2, 3, v27
	v_mul_u32_u24_e32 v3, 3, v28
	v_lshlrev_b32_e32 v67, 2, v0
	v_bfi_b32 v0, 0xffff, v31, v13
	v_bfi_b32 v1, 0xffff, v13, v31
	v_pk_add_f16 v18, v6, v9
	v_lshlrev_b32_e32 v70, 2, v2
	v_lshlrev_b32_e32 v71, 2, v3
	v_mul_u32_u24_e32 v69, 3, v29
	global_wb scope:SCOPE_SE
	s_wait_kmcnt 0x0
	s_barrier_signal -1
	s_barrier_wait -1
	global_inv scope:SCOPE_SE
	ds_store_b32 v67, v12
	ds_store_2addr_b32 v67, v1, v0 offset0:1 offset1:2
	v_bfi_b32 v0, 0xffff, v32, v16
	v_bfi_b32 v1, 0xffff, v16, v32
	v_alignbit_b32 v2, v33, v35, 16
	v_alignbit_b32 v3, v35, v33, 16
	ds_store_b32 v70, v15
	ds_store_2addr_b32 v70, v1, v0 offset0:1 offset1:2
	ds_store_b32 v71, v18
	ds_store_2addr_b32 v71, v3, v2 offset0:1 offset1:2
	s_and_saveexec_b32 s0, vcc_lo
	s_cbranch_execz .LBB0_7
; %bb.6:
	v_lshlrev_b32_e32 v0, 2, v69
	v_bfi_b32 v1, 0xffff, v24, v34
	v_bfi_b32 v2, 0xffff, v34, v24
	ds_store_b32 v0, v26
	ds_store_2addr_b32 v0, v2, v1 offset0:1 offset1:2
.LBB0_7:
	s_wait_alu 0xfffe
	s_or_b32 exec_lo, exec_lo, s0
	v_lshrrev_b32_e32 v83, 16, v13
	v_lshrrev_b32_e32 v42, 16, v16
	;; [unrolled: 1-line block ×3, first 2 shown]
	v_cmp_gt_u16_e64 s0, 0x63, v57
	v_lshrrev_b32_e32 v94, 16, v24
	global_wb scope:SCOPE_SE
	s_wait_dscnt 0x0
	s_barrier_signal -1
	s_barrier_wait -1
	global_inv scope:SCOPE_SE
                                        ; implicit-def: $vgpr36
                                        ; implicit-def: $vgpr95
	s_and_saveexec_b32 s1, s0
	s_cbranch_execz .LBB0_9
; %bb.8:
	v_add_nc_u32_e32 v0, 0x200, v45
	v_add_nc_u32_e32 v1, 0x400, v45
	;; [unrolled: 1-line block ×4, first 2 shown]
	ds_load_b32 v36, v45 offset:4752
	ds_load_2addr_b32 v[14:15], v0 offset0:70 offset1:169
	v_add_nc_u32_e32 v0, 0x800, v45
	ds_load_2addr_b32 v[16:17], v1 offset0:140 offset1:239
	ds_load_2addr_b32 v[25:26], v2 offset0:24 offset1:123
	;; [unrolled: 1-line block ×4, first 2 shown]
	ds_load_2addr_b32 v[12:13], v45 offset1:99
	s_wait_dscnt 0x4
	v_lshrrev_b32_e32 v42, 16, v17
	v_lshrrev_b32_e32 v95, 16, v36
	;; [unrolled: 1-line block ×3, first 2 shown]
	s_wait_dscnt 0x3
	v_lshrrev_b32_e32 v33, 16, v25
	s_wait_dscnt 0x2
	v_lshrrev_b32_e32 v94, 16, v23
	v_bfi_b32 v34, 0xffff, v23, v24
	s_wait_dscnt 0x1
	v_alignbit_b32 v35, v25, v19, 16
	v_bfi_b32 v32, 0xffff, v17, v16
	s_wait_dscnt 0x0
	v_bfi_b32 v31, 0xffff, v14, v13
.LBB0_9:
	s_wait_alu 0xfffe
	s_or_b32 exec_lo, exec_lo, s1
	v_and_b32_e32 v23, 0xff, v57
	s_delay_alu instid0(VALU_DEP_2)
	v_lshrrev_b32_e32 v85, 16, v31
	v_lshrrev_b32_e32 v87, 16, v15
	;; [unrolled: 1-line block ×4, first 2 shown]
	v_mul_lo_u16 v0, 0xab, v23
	v_lshrrev_b32_e32 v96, 16, v18
	v_lshrrev_b32_e32 v88, 16, v32
	;; [unrolled: 1-line block ×4, first 2 shown]
	v_lshrrev_b16 v66, 9, v0
	s_delay_alu instid0(VALU_DEP_1) | instskip(SKIP_1) | instid1(VALU_DEP_2)
	v_mul_lo_u16 v0, v66, 3
	v_and_b32_e32 v66, 0xffff, v66
	v_sub_nc_u16 v0, v57, v0
	s_delay_alu instid0(VALU_DEP_1) | instskip(NEXT) | instid1(VALU_DEP_1)
	v_and_b32_e32 v65, 0xff, v0
	v_mul_u32_u24_e32 v0, 12, v65
	s_delay_alu instid0(VALU_DEP_1)
	v_lshlrev_b32_e32 v0, 2, v0
	s_clause 0x2
	global_load_b128 v[4:7], v0, s[2:3]
	global_load_b128 v[8:11], v0, s[2:3] offset:16
	global_load_b128 v[0:3], v0, s[2:3] offset:32
	global_wb scope:SCOPE_SE
	s_wait_loadcnt 0x0
	s_barrier_signal -1
	s_barrier_wait -1
	global_inv scope:SCOPE_SE
	v_lshrrev_b32_e32 v82, 16, v4
	v_lshrrev_b32_e32 v80, 16, v6
	;; [unrolled: 1-line block ×7, first 2 shown]
	v_mul_f16_e32 v89, v85, v82
	v_mul_f16_e32 v86, v13, v82
	;; [unrolled: 1-line block ×6, first 2 shown]
	v_lshrrev_b32_e32 v79, 16, v7
	v_lshrrev_b32_e32 v78, 16, v8
	;; [unrolled: 1-line block ×4, first 2 shown]
	v_mul_f16_e32 v90, v83, v81
	v_mul_f16_e32 v84, v31, v81
	;; [unrolled: 1-line block ×7, first 2 shown]
	v_fma_f16 v93, v13, v4, -v89
	v_fmac_f16_e32 v86, v85, v4
	v_fmac_f16_e32 v44, v87, v6
	v_fma_f16 v87, v19, v10, -v103
	v_fma_f16 v19, v36, v3, -v108
	v_fmac_f16_e32 v17, v95, v3
	v_lshrrev_b32_e32 v75, 16, v11
	v_mul_f16_e32 v43, v16, v79
	v_mul_f16_e32 v41, v32, v78
	;; [unrolled: 1-line block ×6, first 2 shown]
	v_fma_f16 v92, v31, v5, -v90
	v_fmac_f16_e32 v84, v83, v5
	v_fma_f16 v83, v26, v0, -v105
	v_fma_f16 v26, v24, v2, -v107
	v_fmac_f16_e32 v25, v99, v2
	v_sub_f16_e32 v115, v93, v19
	v_sub_f16_e32 v109, v86, v17
	v_mul_f16_e32 v100, v88, v79
	v_mul_f16_e32 v101, v42, v78
	v_mul_f16_e32 v38, v97, v75
	v_fma_f16 v91, v15, v6, -v91
	v_fmac_f16_e32 v43, v88, v7
	v_fmac_f16_e32 v41, v42, v8
	v_fma_f16 v88, v18, v9, -v102
	v_fma_f16 v42, v34, v1, -v106
	v_fmac_f16_e32 v30, v94, v1
	v_add_f16_e32 v13, v93, v19
	v_add_f16_e32 v15, v86, v17
	v_sub_f16_e32 v119, v92, v26
	v_sub_f16_e32 v110, v84, v25
	v_mul_f16_e32 v102, 0xb770, v109
	v_mul_f16_e32 v120, 0xb770, v115
	;; [unrolled: 1-line block ×3, first 2 shown]
	v_mul_f16_e64 v128, 0xba95, v115
	v_mul_f16_e64 v138, 0xbbf1, v109
	;; [unrolled: 1-line block ×5, first 2 shown]
	v_mul_f16_e32 v40, v18, v77
	v_mul_f16_e32 v104, v33, v75
	v_fma_f16 v90, v16, v7, -v100
	v_fma_f16 v89, v32, v8, -v101
	v_fmac_f16_e32 v39, v35, v10
	v_fmac_f16_e32 v38, v33, v11
	;; [unrolled: 1-line block ×3, first 2 shown]
	v_add_f16_e32 v16, v92, v26
	v_add_f16_e32 v18, v84, v25
	v_sub_f16_e32 v116, v44, v30
	v_sub_f16_e64 v140, v91, v42
	v_mul_f16_e32 v103, 0xba95, v110
	v_mul_f16_e32 v121, 0xba95, v119
	;; [unrolled: 1-line block ×3, first 2 shown]
	v_mul_f16_e64 v130, 0xbb7b, v119
	v_mul_f16_e64 v139, 0xb3a8, v110
	v_mul_f16_e64 v145, 0xb3a8, v119
	v_mul_f16_e64 v151, 0x394e, v110
	v_mul_f16_e64 v161, 0x394e, v119
	v_fmamk_f16 v31, v13, 0x3b15, v102
	v_fma_f16 v32, v15, 0x3b15, -v120
	v_fmamk_f16 v33, v13, 0x388b, v123
	v_fma_f16 v34, v15, 0x388b, -v128
	v_fma_f16 v35, 0x2fb7, v13, v138
	v_fma_f16 v36, v15, 0x2fb7, -v144
	v_fma_f16 v106, 0xb5ac, v13, v149
	v_fma_f16 v168, v15, 0xb5ac, -v158
	v_fma_f16 v85, v97, v11, -v104
	v_add_f16_e32 v24, v91, v42
	v_add_f16_e32 v94, v44, v30
	v_sub_f16_e32 v126, v43, v37
	v_sub_f16_e64 v148, v90, v83
	v_mul_f16_e32 v107, 0xbbf1, v116
	v_mul_f16_e64 v111, 0xbbf1, v140
	v_mul_f16_e32 v125, 0xb3a8, v116
	v_mul_f16_e64 v131, 0xb3a8, v140
	v_mul_f16_e64 v135, 0x3b7b, v116
	;; [unrolled: 1-line block ×5, first 2 shown]
	v_fmamk_f16 v105, v16, 0x388b, v103
	v_fma_f16 v163, v18, 0x388b, -v121
	v_fma_f16 v164, 0xb5ac, v16, v124
	v_fma_f16 v165, v18, 0xb5ac, -v130
	v_fma_f16 v166, 0xbbc4, v16, v139
	;; [unrolled: 2-line block ×3, first 2 shown]
	v_fma_f16 v170, v18, 0xb9fd, -v161
	v_add_f16_e32 v31, v12, v31
	v_add_f16_e32 v32, v14, v32
	;; [unrolled: 1-line block ×7, first 2 shown]
	v_add_f16_e64 v168, v14, v168
	v_fmac_f16_e32 v40, v96, v9
	v_add_f16_e32 v95, v90, v83
	v_add_f16_e32 v96, v43, v37
	v_sub_f16_e64 v134, v41, v38
	v_sub_f16_e64 v155, v89, v85
	v_mul_f16_e32 v101, 0xbb7b, v126
	v_mul_f16_e64 v112, 0xbb7b, v148
	v_mul_f16_e32 v122, 0x394e, v126
	v_mul_f16_e64 v127, 0x394e, v148
	v_mul_f16_e64 v137, 0x3770, v126
	;; [unrolled: 1-line block ×5, first 2 shown]
	v_fma_f16 v171, 0x2fb7, v24, v107
	v_fma_f16 v172, v94, 0x2fb7, -v111
	v_fma_f16 v173, 0xbbc4, v24, v125
	v_fma_f16 v174, v94, 0xbbc4, -v131
	;; [unrolled: 2-line block ×4, first 2 shown]
	v_add_f16_e32 v31, v105, v31
	v_add_f16_e64 v32, v163, v32
	v_add_f16_e64 v33, v164, v33
	;; [unrolled: 1-line block ×7, first 2 shown]
	v_add_f16_e32 v97, v89, v85
	v_add_f16_e32 v98, v41, v38
	v_sub_f16_e64 v147, v40, v39
	v_sub_f16_e64 v162, v88, v87
	v_mul_f16_e64 v104, 0xb94e, v134
	v_mul_f16_e64 v113, 0xb94e, v155
	;; [unrolled: 1-line block ×8, first 2 shown]
	v_fma_f16 v179, 0xb5ac, v95, v101
	v_fma_f16 v180, v96, 0xb5ac, -v112
	v_fma_f16 v181, 0xb9fd, v95, v122
	v_fma_f16 v182, v96, 0xb9fd, -v127
	;; [unrolled: 2-line block ×4, first 2 shown]
	v_add_f16_e64 v31, v171, v31
	v_add_f16_e64 v32, v172, v32
	;; [unrolled: 1-line block ×8, first 2 shown]
	v_add_f16_e32 v99, v88, v87
	v_add_f16_e32 v100, v40, v39
	v_mul_f16_e64 v108, 0xb3a8, v147
	v_mul_f16_e64 v114, 0xb3a8, v162
	;; [unrolled: 1-line block ×8, first 2 shown]
	v_fma_f16 v187, 0xb9fd, v97, v104
	v_fma_f16 v188, v98, 0xb9fd, -v113
	v_fma_f16 v189, 0x2fb7, v97, v117
	v_fma_f16 v190, v98, 0x2fb7, -v129
	;; [unrolled: 2-line block ×4, first 2 shown]
	v_add_f16_e64 v31, v179, v31
	v_add_f16_e64 v32, v180, v32
	;; [unrolled: 1-line block ×8, first 2 shown]
	v_fma_f16 v195, 0xbbc4, v99, v108
	v_fma_f16 v196, v100, 0xbbc4, -v114
	v_fma_f16 v197, 0x3b15, v99, v118
	v_fma_f16 v198, v100, 0x3b15, -v133
	;; [unrolled: 2-line block ×4, first 2 shown]
	v_add_f16_e64 v31, v187, v31
	v_add_f16_e64 v32, v188, v32
	v_add_f16_e64 v33, v189, v33
	v_add_f16_e64 v163, v190, v34
	v_add_f16_e64 v164, v191, v35
	v_add_f16_e64 v36, v192, v36
	v_add_f16_e64 v165, v193, v105
	v_add_f16_e64 v166, v194, v106
	v_add_f16_e64 v105, v195, v31
	v_add_f16_e64 v106, v196, v32
	v_add_f16_e64 v34, v197, v33
	v_add_f16_e64 v35, v198, v163
	v_add_f16_e64 v33, v199, v164
	v_add_f16_e64 v36, v200, v36
	v_add_f16_e64 v31, v201, v165
	v_add_f16_e64 v32, v202, v166
	s_and_saveexec_b32 s1, s0
	s_cbranch_execz .LBB0_11
; %bb.10:
	v_add_f16_e32 v86, v14, v86
	v_mul_f16_e64 v185, 0xb3a8, v115
	v_mul_f16_e64 v191, 0x3770, v119
	;; [unrolled: 1-line block ×4, first 2 shown]
	v_add_f16_e32 v84, v86, v84
	v_fma_f16 v190, 0xbbc4, v15, v185
	v_fma_f16 v195, 0x3b15, v18, v191
	v_mul_f16_e64 v196, 0xb94e, v140
	v_fma_f16 v206, v13, 0xbbc4, -v203
	v_add_f16_e32 v44, v84, v44
	v_add_f16_e64 v190, v14, v190
	v_mul_f16_e64 v207, 0x3770, v110
	v_mul_f16_e64 v172, 0x388b, v18
	;; [unrolled: 1-line block ×3, first 2 shown]
	v_add_f16_e32 v43, v44, v43
	v_add_f16_e64 v190, v195, v190
	v_fma_f16 v195, 0xb9fd, v94, v196
	v_add_f16_e64 v120, v120, v164
	v_add_f16_e32 v93, v12, v93
	v_add_f16_e64 v206, v12, v206
	v_fma_f16 v209, v16, 0x3b15, -v207
	v_mul_f16_e64 v210, 0xb94e, v116
	v_add_f16_e32 v41, v43, v41
	v_mul_f16_e64 v180, 0x2fb7, v94
	v_add_f16_e64 v190, v195, v190
	v_fma_f16 v195, 0x388b, v96, v200
	v_mul_f16_e64 v204, 0xbb7b, v155
	v_add_f16_e32 v120, v14, v120
	v_add_f16_e64 v121, v121, v172
	v_add_f16_e32 v92, v93, v92
	v_add_f16_e64 v206, v209, v206
	v_fma_f16 v209, v24, 0xb9fd, -v210
	v_mul_f16_e64 v211, 0x3a95, v126
	v_add_f16_e32 v40, v41, v40
	v_mul_f16_e64 v189, 0xb5ac, v96
	v_add_f16_e64 v190, v195, v190
	v_fma_f16 v195, 0xb5ac, v98, v204
	v_mul_f16_e32 v115, 0xb94e, v115
	v_add_f16_e32 v120, v121, v120
	v_add_f16_e64 v111, v111, v180
	v_add_f16_e32 v91, v92, v91
	v_add_f16_e64 v206, v209, v206
	v_fma_f16 v209, v95, 0x388b, -v211
	v_mul_f16_e64 v214, 0xbb7b, v134
	v_add_f16_e32 v39, v40, v39
	v_mul_f16_e64 v187, 0x3b15, v94
	v_mul_f16_e64 v202, 0xb9fd, v98
	v_add_f16_e64 v190, v195, v190
	v_mul_f16_e64 v195, 0x3bf1, v162
	v_fma_f16 v213, 0xb9fd, v15, v115
	v_mul_f16_e32 v119, 0x3bf1, v119
	v_add_f16_e32 v111, v111, v120
	v_add_f16_e64 v84, v112, v189
	v_add_f16_e32 v90, v91, v90
	v_add_f16_e64 v206, v209, v206
	v_fma_f16 v209, v97, 0xb5ac, -v214
	v_add_f16_e32 v38, v39, v38
	v_mul_f16_e64 v163, 0x3b15, v13
	v_fma_f16 v212, 0x2fb7, v100, v195
	v_add_f16_e64 v213, v14, v213
	v_fma_f16 v215, 0x2fb7, v18, v119
	v_mul_f16_e64 v140, 0xba95, v140
	v_add_f16_e64 v160, v160, v187
	v_mul_f16_e64 v187, 0xbbc4, v100
	v_add_f16_e32 v44, v84, v111
	v_add_f16_e64 v84, v113, v202
	v_add_f16_e32 v89, v90, v89
	v_mul_f16_e64 v165, 0x388b, v13
	v_mul_f16_e64 v166, 0x388b, v15
	;; [unrolled: 1-line block ×4, first 2 shown]
	v_add_f16_e64 v206, v209, v206
	v_mul_f16_e64 v209, 0x3bf1, v147
	v_mul_f16_e32 v109, 0xb94e, v109
	v_add_f16_e32 v37, v38, v37
	v_mul_f16_e64 v169, 0xb5ac, v13
	v_mul_f16_e64 v170, 0xb5ac, v15
	;; [unrolled: 1-line block ×3, first 2 shown]
	v_add_f16_e64 v190, v212, v190
	v_add_f16_e64 v212, v215, v213
	v_fma_f16 v213, 0x388b, v94, v140
	v_mul_f16_e64 v148, 0x33a8, v148
	v_sub_f16_e64 v92, v163, v102
	v_add_f16_e32 v44, v84, v44
	v_add_f16_e64 v84, v114, v187
	v_add_f16_e32 v88, v89, v88
	v_mul_f16_e64 v173, 0xb5ac, v16
	v_mul_f16_e64 v174, 0xb5ac, v18
	;; [unrolled: 1-line block ×4, first 2 shown]
	v_fma_f16 v215, v99, 0x2fb7, -v209
	v_fma_f16 v216, v13, 0xb9fd, -v109
	v_mul_f16_e32 v110, 0x3bf1, v110
	v_add_f16_e64 v144, v144, v168
	v_sub_f16_e64 v138, v167, v138
	v_add_f16_e64 v128, v128, v166
	v_sub_f16_e64 v123, v165, v123
	v_add_f16_e32 v30, v37, v30
	v_mul_f16_e64 v177, 0xb9fd, v16
	v_mul_f16_e64 v178, 0xb9fd, v18
	;; [unrolled: 1-line block ×3, first 2 shown]
	v_add_f16_e64 v212, v213, v212
	v_fma_f16 v213, 0xbbc4, v96, v148
	v_mul_f16_e64 v155, 0x3770, v155
	v_add_f16_e64 v158, v158, v170
	v_sub_f16_e64 v149, v169, v149
	v_add_f16_e32 v91, v12, v92
	v_sub_f16_e64 v43, v171, v103
	v_add_f16_e32 v44, v84, v44
	v_add_f16_e32 v84, v88, v87
	v_mul_f16_e64 v181, 0xbbc4, v24
	v_mul_f16_e64 v182, 0xbbc4, v94
	;; [unrolled: 1-line block ×4, first 2 shown]
	v_add_f16_e64 v206, v215, v206
	v_add_f16_e64 v215, v12, v216
	v_fma_f16 v216, v16, 0x2fb7, -v110
	v_mul_f16_e32 v116, 0xba95, v116
	v_add_f16_e64 v144, v14, v144
	v_add_f16_e64 v145, v145, v176
	;; [unrolled: 1-line block ×3, first 2 shown]
	v_sub_f16_e64 v139, v175, v139
	v_add_f16_e64 v128, v14, v128
	v_add_f16_e64 v130, v130, v174
	v_add_f16_e32 v123, v12, v123
	v_sub_f16_e64 v124, v173, v124
	v_fma_f16 v40, v15, 0xbbc4, -v185
	v_add_f16_e32 v25, v30, v25
	v_fmac_f16_e64 v203, 0xbbc4, v13
	v_fma_f16 v15, v15, 0xb9fd, -v115
	v_fmac_f16_e32 v109, 0xb9fd, v13
	v_mul_f16_e64 v186, 0x3b15, v24
	v_mul_f16_e64 v188, 0xb5ac, v95
	v_add_f16_e64 v212, v213, v212
	v_fma_f16 v213, 0x3b15, v98, v155
	v_mul_f16_e64 v162, 0xbb7b, v162
	v_add_f16_e64 v161, v161, v178
	v_add_f16_e64 v158, v14, v158
	v_add_f16_e64 v149, v12, v149
	v_sub_f16_e64 v151, v177, v151
	v_add_f16_e32 v41, v43, v91
	v_sub_f16_e64 v43, v179, v107
	v_add_f16_e32 v84, v84, v85
	v_mul_f16_e64 v192, 0xb9fd, v95
	v_mul_f16_e64 v193, 0xb9fd, v96
	;; [unrolled: 1-line block ×4, first 2 shown]
	v_add_f16_e64 v215, v216, v215
	v_fma_f16 v178, v24, 0x388b, -v116
	v_mul_f16_e32 v126, 0x33a8, v126
	v_add_f16_e64 v144, v145, v144
	v_add_f16_e64 v143, v143, v184
	;; [unrolled: 1-line block ×3, first 2 shown]
	v_sub_f16_e64 v135, v183, v135
	v_add_f16_e64 v128, v130, v128
	v_add_f16_e64 v130, v131, v182
	v_add_f16_e32 v123, v124, v123
	v_sub_f16_e64 v124, v181, v125
	v_add_f16_e32 v39, v14, v40
	v_fma_f16 v40, v18, 0x3b15, -v191
	v_add_f16_e32 v17, v25, v17
	v_add_f16_e64 v25, v12, v203
	v_fmac_f16_e64 v207, 0x3b15, v16
	v_add_f16_e32 v14, v14, v15
	v_fma_f16 v15, v18, 0x2fb7, -v119
	v_add_f16_e32 v12, v12, v109
	v_fmac_f16_e32 v110, 0x2fb7, v16
	v_mul_f16_e64 v198, 0x2fb7, v95
	v_mul_f16_e64 v199, 0x2fb7, v96
	;; [unrolled: 1-line block ×3, first 2 shown]
	v_add_f16_e64 v212, v213, v212
	v_fma_f16 v170, 0xb5ac, v100, v162
	v_add_f16_e64 v158, v161, v158
	v_add_f16_e64 v149, v151, v149
	v_sub_f16_e64 v152, v186, v152
	v_add_f16_e32 v41, v43, v41
	v_sub_f16_e64 v43, v188, v101
	v_add_f16_e32 v83, v84, v83
	v_mul_f16_e64 v205, 0x2fb7, v97
	v_mul_f16_e64 v208, 0x2fb7, v98
	;; [unrolled: 1-line block ×4, first 2 shown]
	v_add_f16_e64 v178, v178, v215
	v_fma_f16 v215, v95, 0xbbc4, -v126
	v_add_f16_e64 v143, v143, v144
	v_add_f16_e64 v141, v141, v197
	;; [unrolled: 1-line block ×3, first 2 shown]
	v_sub_f16_e64 v137, v194, v137
	v_add_f16_e64 v128, v130, v128
	v_add_f16_e64 v127, v127, v193
	v_add_f16_e32 v123, v124, v123
	v_sub_f16_e64 v122, v192, v122
	v_add_f16_e32 v38, v40, v39
	v_fma_f16 v39, v94, 0xb9fd, -v196
	v_add_f16_e64 v13, v207, v25
	v_fmac_f16_e64 v210, 0xb9fd, v24
	v_add_f16_e32 v14, v15, v14
	v_fma_f16 v15, v94, 0x388b, -v140
	v_add_f16_e32 v12, v110, v12
	v_fmac_f16_e32 v116, 0x388b, v24
	v_mul_f16_e64 v216, 0xbbc4, v97
	v_add_f16_e64 v170, v170, v212
	v_mul_f16_e64 v212, 0xbbc4, v98
	v_mul_f16_e64 v161, 0xbbc4, v99
	v_add_f16_e64 v158, v160, v158
	v_mul_f16_e64 v134, 0x3770, v134
	v_add_f16_e64 v157, v157, v199
	v_add_f16_e64 v149, v152, v149
	v_sub_f16_e64 v152, v198, v153
	v_add_f16_e32 v41, v43, v41
	v_sub_f16_e64 v43, v201, v104
	v_add_f16_e32 v42, v83, v42
	v_add_f16_e64 v178, v215, v178
	v_mul_f16_e64 v215, 0x3b15, v99
	v_mul_f16_e64 v169, 0x3b15, v100
	;; [unrolled: 1-line block ×4, first 2 shown]
	v_add_f16_e64 v139, v141, v143
	v_add_f16_e64 v141, v142, v213
	;; [unrolled: 1-line block ×3, first 2 shown]
	v_sub_f16_e64 v130, v217, v132
	v_add_f16_e64 v127, v127, v128
	v_add_f16_e64 v128, v129, v208
	v_add_f16_e32 v122, v122, v123
	v_sub_f16_e64 v117, v205, v117
	v_add_f16_e32 v37, v39, v38
	v_fma_f16 v38, v96, 0x388b, -v200
	v_add_f16_e64 v13, v210, v13
	v_fmac_f16_e64 v211, 0x388b, v95
	v_add_f16_e32 v14, v15, v14
	v_fma_f16 v15, v96, 0xbbc4, -v148
	v_add_f16_e32 v12, v116, v12
	v_fmac_f16_e32 v126, 0xbbc4, v95
	v_fma_f16 v199, v97, 0x3b15, -v134
	v_mul_f16_e64 v147, 0xbb7b, v147
	v_mul_f16_e64 v151, 0x388b, v99
	;; [unrolled: 1-line block ×3, first 2 shown]
	v_add_f16_e64 v157, v157, v158
	v_add_f16_e64 v156, v156, v212
	;; [unrolled: 1-line block ×3, first 2 shown]
	v_sub_f16_e64 v150, v216, v150
	v_add_f16_e32 v40, v43, v41
	v_sub_f16_e64 v41, v161, v108
	v_add_f16_e32 v26, v42, v26
	v_add_f16_e64 v131, v141, v139
	v_add_f16_e64 v138, v146, v177
	;; [unrolled: 1-line block ×3, first 2 shown]
	v_sub_f16_e64 v125, v160, v136
	v_add_f16_e64 v127, v128, v127
	v_add_f16_e64 v128, v133, v169
	v_add_f16_e32 v86, v117, v122
	v_sub_f16_e64 v93, v215, v118
	v_add_f16_e32 v30, v38, v37
	v_fma_f16 v37, v98, 0xb5ac, -v204
	v_add_f16_e64 v13, v211, v13
	v_fmac_f16_e64 v214, 0xb5ac, v97
	v_add_f16_e32 v14, v15, v14
	v_fma_f16 v15, v98, 0x3b15, -v155
	v_add_f16_e32 v12, v126, v12
	v_fmac_f16_e64 v134, 0x3b15, v97
	v_add_f16_e64 v178, v199, v178
	v_fma_f16 v199, v99, 0xb5ac, -v147
	v_add_f16_e64 v156, v156, v157
	v_add_f16_e64 v157, v159, v186
	;; [unrolled: 1-line block ×3, first 2 shown]
	v_sub_f16_e64 v150, v151, v154
	v_add_f16_e32 v39, v41, v40
	v_add_f16_e32 v19, v26, v19
	v_mul_u32_u24_e32 v18, 39, v66
	v_add_f16_e64 v131, v138, v131
	v_add_f16_e64 v124, v125, v129
	;; [unrolled: 1-line block ×3, first 2 shown]
	v_add_f16_e32 v86, v93, v86
	v_add_f16_e32 v26, v37, v30
	v_fma_f16 v30, v100, 0x2fb7, -v195
	v_add_f16_e64 v13, v214, v13
	v_fmac_f16_e64 v209, 0x2fb7, v99
	v_add_f16_e32 v14, v15, v14
	v_fma_f16 v15, v100, 0xb5ac, -v162
	v_add_f16_e64 v12, v134, v12
	v_fmac_f16_e64 v147, 0xb5ac, v99
	v_add_f16_e64 v153, v199, v178
	v_add_f16_e64 v152, v157, v156
	;; [unrolled: 1-line block ×3, first 2 shown]
	v_add_lshl_u32 v18, v18, v65, 2
	v_pack_b32_f16 v17, v19, v17
	v_pack_b32_f16 v19, v39, v44
	v_add_f16_e32 v16, v30, v26
	v_pack_b32_f16 v24, v86, v125
	v_pack_b32_f16 v25, v124, v131
	v_add_f16_e64 v13, v209, v13
	v_add_f16_e32 v14, v15, v14
	v_add_f16_e64 v12, v147, v12
	ds_store_2addr_b32 v18, v17, v19 offset1:3
	ds_store_2addr_b32 v18, v24, v25 offset0:6 offset1:9
	v_pack_b32_f16 v15, v145, v152
	v_pack_b32_f16 v17, v153, v170
	;; [unrolled: 1-line block ×5, first 2 shown]
	v_perm_b32 v14, v32, v31, 0x5040100
	v_perm_b32 v16, v36, v33, 0x5040100
	;; [unrolled: 1-line block ×4, first 2 shown]
	ds_store_2addr_b32 v18, v15, v17 offset0:12 offset1:15
	ds_store_2addr_b32 v18, v19, v13 offset0:18 offset1:21
	;; [unrolled: 1-line block ×4, first 2 shown]
	ds_store_b32 v18, v25 offset:144
.LBB0_11:
	s_wait_alu 0xfffe
	s_or_b32 exec_lo, exec_lo, s1
	v_add_nc_u32_e32 v12, 0x300, v45
	v_add_nc_u32_e32 v16, 0xc00, v45
	v_add_nc_u32_e32 v17, 0x800, v45
	global_wb scope:SCOPE_SE
	s_wait_dscnt 0x0
	s_barrier_signal -1
	s_barrier_wait -1
	global_inv scope:SCOPE_SE
	ds_load_2addr_b32 v[14:15], v45 offset1:117
	ds_load_2addr_b32 v[12:13], v12 offset0:42 offset1:237
	ds_load_2addr_b32 v[18:19], v16 offset0:90 offset1:207
	;; [unrolled: 1-line block ×3, first 2 shown]
	ds_load_b32 v37, v45 offset:4368
	s_and_saveexec_b32 s1, vcc_lo
	s_cbranch_execz .LBB0_13
; %bb.12:
	ds_load_b32 v31, v45 offset:1404
	ds_load_b32 v33, v45 offset:3120
	;; [unrolled: 1-line block ×3, first 2 shown]
	s_wait_dscnt 0x2
	v_lshrrev_b32_e32 v32, 16, v31
	s_wait_dscnt 0x1
	v_lshrrev_b32_e32 v36, 16, v33
	;; [unrolled: 2-line block ×3, first 2 shown]
.LBB0_13:
	s_wait_alu 0xfffe
	s_or_b32 exec_lo, exec_lo, s1
	v_mul_lo_u16 v23, 0xa5, v23
	v_and_b32_e32 v24, 0xff, v27
	v_and_b32_e32 v25, 0xffff, v28
	;; [unrolled: 1-line block ×3, first 2 shown]
	s_wait_dscnt 0x2
	v_lshrrev_b32_e32 v89, 16, v18
	v_lshrrev_b16 v23, 8, v23
	v_mul_lo_u16 v24, 0xa5, v24
	v_mul_u32_u24_e32 v25, 0xa41b, v25
	v_mul_u32_u24_e32 v26, 0xa41b, v26
	s_wait_dscnt 0x1
	v_lshrrev_b32_e32 v91, 16, v16
	v_sub_nc_u16 v30, v57, v23
	v_lshrrev_b16 v24, 8, v24
	v_lshrrev_b32_e32 v25, 16, v25
	v_lshrrev_b32_e32 v26, 16, v26
	;; [unrolled: 1-line block ×3, first 2 shown]
	v_lshrrev_b16 v30, 1, v30
	v_sub_nc_u16 v38, v27, v24
	v_sub_nc_u16 v39, v28, v25
	v_sub_nc_u16 v40, v29, v26
	v_lshrrev_b32_e32 v93, 16, v17
	v_and_b32_e32 v30, 0x7f, v30
	v_lshrrev_b16 v38, 1, v38
	s_wait_dscnt 0x0
	v_lshrrev_b32_e32 v94, 16, v37
	v_lshrrev_b32_e32 v90, 16, v15
	v_add_nc_u16 v23, v30, v23
	v_lshrrev_b16 v30, 1, v39
	v_lshrrev_b16 v39, 1, v40
	v_and_b32_e32 v38, 0x7f, v38
	s_delay_alu instid0(VALU_DEP_4) | instskip(NEXT) | instid1(VALU_DEP_4)
	v_lshrrev_b16 v23, 5, v23
	v_add_nc_u16 v25, v30, v25
	s_delay_alu instid0(VALU_DEP_4) | instskip(NEXT) | instid1(VALU_DEP_4)
	v_add_nc_u16 v26, v39, v26
	v_add_nc_u16 v24, v38, v24
	s_delay_alu instid0(VALU_DEP_4) | instskip(NEXT) | instid1(VALU_DEP_4)
	v_and_b32_e32 v40, 7, v23
	v_lshrrev_b16 v41, 5, v25
	s_delay_alu instid0(VALU_DEP_4) | instskip(NEXT) | instid1(VALU_DEP_4)
	v_lshrrev_b16 v42, 5, v26
	v_lshrrev_b16 v23, 5, v24
	s_delay_alu instid0(VALU_DEP_4) | instskip(NEXT) | instid1(VALU_DEP_4)
	v_mul_lo_u16 v24, v40, 39
	v_mul_lo_u16 v25, v41, 39
	s_delay_alu instid0(VALU_DEP_4) | instskip(NEXT) | instid1(VALU_DEP_4)
	v_mul_lo_u16 v26, v42, 39
	v_and_b32_e32 v43, 7, v23
	v_and_b32_e32 v40, 0xffff, v40
	v_sub_nc_u16 v23, v57, v24
	v_sub_nc_u16 v44, v28, v25
	;; [unrolled: 1-line block ×3, first 2 shown]
	v_mul_lo_u16 v24, v43, 39
	v_and_b32_e32 v43, 0xffff, v43
	v_and_b32_e32 v84, 0xff, v23
	v_lshlrev_b16 v23, 3, v44
	v_lshlrev_b16 v25, 3, v83
	v_sub_nc_u16 v24, v27, v24
	v_mad_u16 v41, 0x75, v41, v44
	v_lshlrev_b32_e32 v26, 3, v84
	v_and_b32_e32 v23, 0xffff, v23
	v_and_b32_e32 v25, 0xffff, v25
	;; [unrolled: 1-line block ×3, first 2 shown]
	v_mul_u32_u24_e32 v40, 0x75, v40
	global_load_b64 v[29:30], v26, s[2:3] offset:144
	v_add_co_u32 v23, s1, s2, v23
	s_wait_alu 0xf1ff
	v_add_co_ci_u32_e64 v24, null, s3, 0, s1
	v_lshlrev_b32_e32 v26, 3, v85
	v_add_co_u32 v38, s1, s2, v25
	s_wait_alu 0xf1ff
	v_add_co_ci_u32_e64 v39, null, s3, 0, s1
	s_clause 0x2
	global_load_b64 v[27:28], v26, s[2:3] offset:144
	global_load_b64 v[25:26], v[23:24], off offset:144
	global_load_b64 v[23:24], v[38:39], off offset:144
	v_lshrrev_b32_e32 v39, 16, v13
	v_and_b32_e32 v41, 0xffff, v41
	v_mul_u32_u24_e32 v43, 0x75, v43
	v_mad_u16 v83, 0x75, v42, v83
	v_add_lshl_u32 v86, v40, v84, 2
	v_lshrrev_b32_e32 v38, 16, v14
	v_lshlrev_b32_e32 v84, 2, v41
	v_add_lshl_u32 v87, v43, v85, 2
	v_lshrrev_b32_e32 v44, 16, v12
	global_wb scope:SCOPE_SE
	s_wait_loadcnt 0x0
	s_barrier_signal -1
	s_barrier_wait -1
	global_inv scope:SCOPE_SE
	v_lshrrev_b32_e32 v104, 16, v29
	v_lshrrev_b32_e32 v102, 16, v30
	s_delay_alu instid0(VALU_DEP_2) | instskip(SKIP_1) | instid1(VALU_DEP_3)
	v_mul_f16_e32 v40, v39, v104
	v_mul_f16_e32 v41, v13, v104
	;; [unrolled: 1-line block ×4, first 2 shown]
	v_lshrrev_b32_e32 v103, 16, v27
	v_lshrrev_b32_e32 v101, 16, v28
	;; [unrolled: 1-line block ×6, first 2 shown]
	v_fma_f16 v40, v13, v29, -v40
	v_fmac_f16_e32 v41, v39, v29
	v_fma_f16 v39, v18, v30, -v42
	v_fmac_f16_e32 v43, v89, v30
	v_mul_f16_e32 v42, v91, v103
	v_mul_f16_e32 v89, v16, v103
	;; [unrolled: 1-line block ×12, first 2 shown]
	v_fma_f16 v42, v16, v27, -v42
	v_fmac_f16_e32 v89, v91, v27
	v_fma_f16 v91, v19, v28, -v95
	v_fmac_f16_e32 v96, v92, v28
	v_fmac_f16_e32 v18, v36, v23
	v_fma_f16 v16, v34, v24, -v110
	v_fmac_f16_e32 v13, v35, v24
	v_add_f16_e32 v34, v40, v39
	v_sub_f16_e32 v35, v41, v43
	v_add_f16_e32 v36, v38, v41
	v_add_f16_e32 v41, v41, v43
	v_fma_f16 v19, v17, v25, -v97
	v_fmac_f16_e32 v98, v93, v25
	v_fma_f16 v37, v37, v26, -v107
	v_fmac_f16_e32 v108, v94, v26
	v_fma_f16 v17, v33, v23, -v109
	v_add_f16_e32 v33, v14, v40
	v_sub_f16_e32 v40, v40, v39
	v_fma_f16 v92, -0.5, v34, v14
	v_add_f16_e32 v36, v36, v43
	v_fmac_f16_e32 v38, -0.5, v41
	v_add_f16_e32 v34, v42, v91
	v_sub_f16_e32 v41, v89, v96
	v_add_f16_e32 v43, v90, v89
	v_add_f16_e32 v89, v89, v96
	;; [unrolled: 1-line block ×3, first 2 shown]
	v_sub_f16_e32 v95, v98, v108
	v_add_f16_e32 v97, v44, v98
	v_add_f16_e32 v98, v98, v108
	;; [unrolled: 1-line block ×6, first 2 shown]
	v_sub_f16_e32 v42, v42, v91
	v_fmamk_f16 v111, v35, 0x3aee, v92
	v_fmac_f16_e32 v92, 0xbaee, v35
	v_fmamk_f16 v35, v40, 0xbaee, v38
	v_fmac_f16_e32 v15, -0.5, v34
	v_fmac_f16_e32 v90, -0.5, v89
	v_add_f16_e32 v93, v12, v19
	v_sub_f16_e32 v107, v19, v37
	v_fmac_f16_e32 v12, -0.5, v94
	v_fmac_f16_e32 v44, -0.5, v98
	v_sub_f16_e32 v14, v18, v13
	v_sub_f16_e32 v19, v17, v16
	v_fmac_f16_e32 v38, 0x3aee, v40
	v_add_f16_e32 v40, v33, v91
	v_fma_f16 v33, -0.5, v109, v31
	v_fma_f16 v34, -0.5, v110, v32
	v_add_f16_e32 v91, v43, v96
	v_pack_b32_f16 v36, v39, v36
	v_fmamk_f16 v39, v41, 0x3aee, v15
	v_fmac_f16_e32 v15, 0xbaee, v41
	v_fmamk_f16 v41, v42, 0xbaee, v90
	v_pack_b32_f16 v35, v111, v35
	v_fmac_f16_e32 v90, 0x3aee, v42
	v_add_f16_e32 v37, v93, v37
	v_add_f16_e32 v89, v97, v108
	v_fmamk_f16 v42, v95, 0x3aee, v12
	v_fmamk_f16 v93, v107, 0xbaee, v44
	v_fmac_f16_e32 v12, 0xbaee, v95
	v_fmac_f16_e32 v44, 0x3aee, v107
	v_fmamk_f16 v43, v14, 0xbaee, v33
	v_fmamk_f16 v107, v19, 0x3aee, v34
	v_pack_b32_f16 v38, v92, v38
	v_pack_b32_f16 v40, v40, v91
	ds_store_2addr_b32 v86, v36, v35 offset1:39
	v_pack_b32_f16 v35, v39, v41
	v_pack_b32_f16 v15, v15, v90
	;; [unrolled: 1-line block ×5, first 2 shown]
	ds_store_b32 v86, v38 offset:312
	ds_store_2addr_b32 v87, v40, v35 offset1:39
	ds_store_b32 v87, v15 offset:312
	ds_store_2addr_b32 v84, v37, v36 offset1:39
	ds_store_b32 v84, v12 offset:312
	s_and_saveexec_b32 s1, vcc_lo
	s_cbranch_execz .LBB0_15
; %bb.14:
	v_mul_f16_e32 v12, 0x3aee, v19
	v_add_f16_e32 v15, v32, v18
	v_add_f16_e32 v17, v31, v17
	v_mul_f16_e32 v14, 0x3aee, v14
	s_delay_alu instid0(VALU_DEP_4) | instskip(NEXT) | instid1(VALU_DEP_4)
	v_sub_f16_e32 v12, v34, v12
	v_add_f16_e32 v13, v15, v13
	v_and_b32_e32 v15, 0xffff, v83
	v_add_f16_e32 v16, v17, v16
	v_add_f16_e32 v14, v14, v33
	s_delay_alu instid0(VALU_DEP_3) | instskip(NEXT) | instid1(VALU_DEP_3)
	v_lshlrev_b32_e32 v15, 2, v15
	v_pack_b32_f16 v13, v16, v13
	s_delay_alu instid0(VALU_DEP_3)
	v_pack_b32_f16 v12, v14, v12
	v_perm_b32 v14, v107, v43, 0x5040100
	ds_store_2addr_b32 v15, v13, v12 offset1:39
	ds_store_b32 v15, v14 offset:312
.LBB0_15:
	s_wait_alu 0xfffe
	s_or_b32 exec_lo, exec_lo, s1
	v_mad_co_u64_u32 v[31:32], null, v57, 40, s[2:3]
	global_wb scope:SCOPE_SE
	s_wait_dscnt 0x0
	s_barrier_signal -1
	s_barrier_wait -1
	global_inv scope:SCOPE_SE
	v_add_nc_u32_e32 v37, 0x600, v45
	v_add_nc_u32_e32 v39, 0x200, v45
	s_clause 0x2
	global_load_b128 v[16:19], v[31:32], off offset:456
	global_load_b128 v[12:15], v[31:32], off offset:472
	global_load_b64 v[31:32], v[31:32], off offset:488
	ds_load_2addr_b32 v[33:34], v45 offset1:117
	v_add_nc_u32_e32 v35, 0xa00, v45
	v_add_nc_u32_e32 v38, 0xe00, v45
	ds_load_b32 v121, v45 offset:4680
	ds_load_2addr_b32 v[113:114], v39 offset0:106 offset1:223
	ds_load_2addr_b32 v[115:116], v37 offset0:84 offset1:201
	;; [unrolled: 1-line block ×4, first 2 shown]
	s_add_nc_u64 s[2:3], s[16:17], 0x141c
	s_wait_dscnt 0x5
	v_lshrrev_b32_e32 v42, 16, v34
	v_lshrrev_b32_e32 v109, 16, v33
	s_wait_dscnt 0x4
	v_lshrrev_b32_e32 v122, 16, v121
	s_wait_dscnt 0x3
	;; [unrolled: 2-line block ×4, first 2 shown]
	v_lshrrev_b32_e32 v127, 16, v119
	v_lshrrev_b32_e32 v128, 16, v120
	;; [unrolled: 1-line block ×6, first 2 shown]
	s_wait_loadcnt 0x2
	v_lshrrev_b32_e32 v98, 16, v16
	v_lshrrev_b32_e32 v97, 16, v17
	;; [unrolled: 1-line block ×3, first 2 shown]
	s_wait_loadcnt 0x1
	v_lshrrev_b32_e32 v92, 16, v14
	v_lshrrev_b32_e32 v91, 16, v15
	s_wait_loadcnt 0x0
	v_lshrrev_b32_e32 v89, 16, v31
	v_mul_f16_e64 v129, v42, v98
	v_mul_f16_e64 v130, v34, v98
	v_lshrrev_b32_e32 v94, 16, v12
	v_lshrrev_b32_e32 v90, 16, v32
	v_mul_f16_e64 v131, v108, v97
	v_mul_f16_e64 v132, v113, v97
	;; [unrolled: 1-line block ×6, first 2 shown]
	v_fma_f16 v129, v34, v16, -v129
	v_fmac_f16_e64 v130, v42, v16
	v_lshrrev_b32_e32 v95, 16, v19
	v_mul_f16_e64 v133, v111, v96
	v_mul_f16_e32 v112, v116, v94
	v_mul_f16_e32 v44, v118, v92
	v_mul_f16_e32 v36, v119, v91
	v_mul_f16_e64 v142, v122, v90
	v_mul_f16_e32 v40, v121, v90
	v_fma_f16 v113, v113, v17, -v131
	v_fmac_f16_e64 v132, v108, v17
	v_fmac_f16_e64 v134, v111, v18
	v_fma_f16 v111, v118, v14, -v139
	v_fma_f16 v108, v119, v15, -v140
	;; [unrolled: 1-line block ×3, first 2 shown]
	v_add_f16_e64 v118, v33, v129
	v_add_f16_e64 v119, v109, v130
	v_lshrrev_b32_e32 v93, 16, v13
	v_mul_f16_e64 v135, v123, v95
	v_mul_f16_e64 v136, v115, v95
	;; [unrolled: 1-line block ×3, first 2 shown]
	v_mul_f16_e32 v41, v120, v89
	v_fma_f16 v114, v114, v18, -v133
	v_fmac_f16_e32 v112, v124, v12
	v_fmac_f16_e32 v44, v126, v14
	v_fma_f16 v34, v121, v32, -v142
	v_fmac_f16_e32 v40, v122, v32
	v_add_f16_e32 v124, v113, v42
	v_sub_f16_e32 v126, v113, v42
	v_add_f16_e32 v113, v118, v113
	v_add_f16_e64 v118, v119, v132
	v_mul_f16_e64 v138, v125, v93
	v_mul_f16_e32 v110, v117, v93
	v_fma_f16 v115, v115, v19, -v135
	v_fmac_f16_e64 v136, v123, v19
	v_fmac_f16_e64 v41, v128, v31
	v_add_f16_e64 v121, v130, v40
	v_sub_f16_e64 v122, v129, v34
	v_sub_f16_e64 v123, v130, v40
	v_add_f16_e64 v128, v114, v108
	v_sub_f16_e64 v130, v114, v108
	v_add_f16_e32 v113, v113, v114
	v_add_f16_e64 v114, v118, v134
	v_fma_f16 v116, v116, v12, -v137
	v_fma_f16 v117, v117, v13, -v138
	v_fmac_f16_e32 v110, v125, v13
	v_fmac_f16_e32 v36, v127, v15
	v_add_f16_e64 v120, v129, v34
	v_add_f16_e64 v125, v132, v41
	v_sub_f16_e64 v127, v132, v41
	v_mul_f16_e32 v119, 0xb853, v123
	v_mul_f16_e64 v132, 0xb853, v122
	v_add_f16_e32 v113, v113, v115
	v_add_f16_e64 v114, v114, v136
	v_sub_f16_e64 v131, v134, v36
	v_sub_f16_e64 v137, v115, v111
	;; [unrolled: 1-line block ×5, first 2 shown]
	v_mul_f16_e64 v143, 0xbb47, v123
	v_mul_f16_e64 v144, 0xbb47, v122
	;; [unrolled: 1-line block ×6, first 2 shown]
	v_mul_f16_e32 v123, 0xb482, v123
	v_mul_f16_e32 v122, 0xb482, v122
	v_add_f16_e64 v129, v134, v36
	v_add_f16_e64 v140, v112, v110
	v_mul_f16_e64 v149, 0xbb47, v127
	v_mul_f16_e64 v150, 0xbb47, v126
	v_fma_f16 v118, v120, 0x3abb, -v119
	v_fma_f16 v134, 0x3abb, v121, v132
	v_add_f16_e32 v113, v113, v116
	v_add_f16_e32 v112, v114, v112
	v_add_f16_e64 v133, v115, v111
	v_add_f16_e64 v135, v136, v44
	;; [unrolled: 1-line block ×3, first 2 shown]
	v_mul_f16_e64 v151, 0xba0c, v127
	v_mul_f16_e64 v152, 0xba0c, v126
	;; [unrolled: 1-line block ×6, first 2 shown]
	v_mul_f16_e32 v127, 0x3853, v127
	v_mul_f16_e32 v126, 0x3853, v126
	v_mul_f16_e64 v157, 0xbbeb, v131
	v_mul_f16_e64 v158, 0xbbeb, v130
	v_mul_f16_e64 v159, 0x3482, v131
	v_mul_f16_e64 v160, 0x3482, v130
	v_mul_f16_e64 v161, 0x3b47, v131
	v_mul_f16_e64 v162, 0x3b47, v130
	v_mul_f16_e64 v163, 0xb853, v131
	v_mul_f16_e64 v164, 0xb853, v130
	v_mul_f16_e64 v131, 0xba0c, v131
	v_mul_f16_e64 v130, 0xba0c, v130
	v_mul_f16_e64 v165, 0xba0c, v138
	v_mul_f16_e64 v166, 0xba0c, v137
	v_mul_f16_e64 v167, 0x3beb, v138
	v_mul_f16_e64 v168, 0x3beb, v137
	v_mul_f16_e64 v169, 0xb853, v138
	v_mul_f16_e64 v170, 0xb853, v137
	v_mul_f16_e64 v171, 0xb482, v138
	v_mul_f16_e64 v172, 0xb482, v137
	v_mul_f16_e64 v138, 0x3b47, v138
	v_mul_f16_e64 v137, 0x3b47, v137
	v_mul_f16_e64 v173, 0xb482, v142
	v_mul_f16_e64 v174, 0xb482, v141
	v_mul_f16_e64 v175, 0x3853, v142
	v_mul_f16_e64 v176, 0x3853, v141
	v_mul_f16_e64 v177, 0xba0c, v142
	v_mul_f16_e64 v178, 0xba0c, v141
	v_mul_f16_e64 v179, 0x3b47, v142
	v_mul_f16_e64 v180, 0x3b47, v141
	v_mul_f16_e64 v142, 0xbbeb, v142
	v_mul_f16_e64 v141, 0xbbeb, v141
	v_fmac_f16_e32 v119, 0x3abb, v120
	v_fma_f16 v132, v121, 0x3abb, -v132
	v_fma_f16 v181, v120, 0x36a6, -v143
	v_fma_f16 v182, 0x36a6, v121, v144
	v_fmac_f16_e64 v143, 0x36a6, v120
	v_fma_f16 v144, v121, 0x36a6, -v144
	v_fma_f16 v183, v120, 0xb08e, -v145
	v_fma_f16 v184, 0xb08e, v121, v146
	v_fmac_f16_e64 v145, 0xb08e, v120
	;; [unrolled: 4-line block ×3, first 2 shown]
	v_fma_f16 v187, v120, 0xbbad, -v123
	v_fma_f16 v188, 0xbbad, v121, v122
	v_fma_f16 v148, v121, 0xb93d, -v148
	v_fmac_f16_e32 v123, 0xbbad, v120
	v_fma_f16 v120, v121, 0xbbad, -v122
	v_fma_f16 v121, v124, 0x36a6, -v149
	v_fma_f16 v122, 0x36a6, v125, v150
	v_add_f16_e32 v115, v33, v118
	v_add_f16_e64 v118, v109, v134
	v_add_f16_e32 v113, v113, v117
	v_add_f16_e32 v110, v112, v110
	v_fmac_f16_e64 v149, 0x36a6, v124
	v_fma_f16 v150, v125, 0x36a6, -v150
	v_fma_f16 v189, v124, 0xb93d, -v151
	v_fma_f16 v190, 0xb93d, v125, v152
	v_fmac_f16_e64 v151, 0xb93d, v124
	v_fma_f16 v152, v125, 0xb93d, -v152
	v_fma_f16 v191, v124, 0xbbad, -v153
	v_fma_f16 v192, 0xbbad, v125, v154
	v_fmac_f16_e64 v153, 0xbbad, v124
	v_fma_f16 v154, v125, 0xbbad, -v154
	v_fma_f16 v193, v124, 0xb08e, -v155
	v_fma_f16 v194, 0xb08e, v125, v156
	v_fmac_f16_e64 v155, 0xb08e, v124
	v_fma_f16 v156, v125, 0xb08e, -v156
	v_fma_f16 v195, v124, 0x3abb, -v127
	v_fma_f16 v196, 0x3abb, v125, v126
	v_fmac_f16_e32 v127, 0x3abb, v124
	v_fma_f16 v124, v125, 0x3abb, -v126
	v_fma_f16 v125, v128, 0xb08e, -v157
	v_fma_f16 v126, 0xb08e, v129, v158
	v_fmac_f16_e64 v157, 0xb08e, v128
	v_fma_f16 v158, v129, 0xb08e, -v158
	v_fma_f16 v197, v128, 0xbbad, -v159
	v_fma_f16 v198, 0xbbad, v129, v160
	v_fmac_f16_e64 v159, 0xbbad, v128
	;; [unrolled: 4-line block ×15, first 2 shown]
	v_fma_f16 v139, v140, 0xb08e, -v141
	v_add_f16_e32 v119, v33, v119
	v_add_f16_e64 v132, v109, v132
	v_add_f16_e64 v134, v33, v181
	;; [unrolled: 1-line block ×15, first 2 shown]
	v_add_f16_e32 v33, v33, v123
	v_add_f16_e32 v109, v109, v120
	;; [unrolled: 1-line block ×6, first 2 shown]
	v_add_f16_e64 v116, v149, v119
	v_add_f16_e64 v118, v150, v132
	;; [unrolled: 1-line block ×16, first 2 shown]
	v_add_f16_e32 v33, v127, v33
	v_add_f16_e32 v109, v124, v109
	;; [unrolled: 1-line block ×6, first 2 shown]
	v_add_f16_e64 v115, v157, v116
	v_add_f16_e64 v116, v158, v118
	;; [unrolled: 1-line block ×20, first 2 shown]
	v_add_f16_e32 v42, v111, v42
	v_add_f16_e32 v41, v44, v41
	v_add_f16_e64 v113, v165, v115
	v_add_f16_e64 v114, v166, v116
	;; [unrolled: 1-line block ×20, first 2 shown]
	v_add_f16_e32 v34, v42, v34
	v_add_f16_e32 v40, v41, v40
	v_add_f16_e64 v109, v173, v113
	v_add_f16_e64 v110, v174, v114
	;; [unrolled: 1-line block ×18, first 2 shown]
	v_pack_b32_f16 v111, v130, v112
	v_pack_b32_f16 v34, v34, v40
	;; [unrolled: 1-line block ×11, first 2 shown]
	ds_store_2addr_b32 v45, v34, v111 offset1:117
	ds_store_2addr_b32 v39, v112, v41 offset0:106 offset1:223
	ds_store_2addr_b32 v37, v42, v113 offset0:84 offset1:201
	;; [unrolled: 1-line block ×4, first 2 shown]
	ds_store_b32 v45, v115 offset:4680
	global_wb scope:SCOPE_SE
	s_wait_dscnt 0x0
	s_barrier_signal -1
	s_barrier_wait -1
	global_inv scope:SCOPE_SE
	s_clause 0x8
	global_load_b32 v33, v[20:21], off offset:5148
	global_load_b32 v42, v45, s[2:3] offset:1716
	global_load_b32 v44, v45, s[2:3] offset:468
	;; [unrolled: 1-line block ×8, first 2 shown]
	ds_load_2addr_b32 v[39:40], v45 offset1:117
	ds_load_b32 v123, v45 offset:4368
	s_wait_dscnt 0x1
	v_lshrrev_b32_e32 v34, 16, v39
	v_lshrrev_b32_e32 v124, 16, v40
	s_wait_dscnt 0x0
	v_lshrrev_b32_e32 v125, 16, v123
	s_wait_loadcnt 0x7
	v_lshrrev_b32_e32 v126, 16, v42
	s_wait_loadcnt 0x5
	;; [unrolled: 2-line block ×4, first 2 shown]
	v_lshrrev_b32_e32 v131, 16, v119
	v_lshrrev_b32_e32 v41, 16, v33
	v_mul_f16_e64 v130, v125, v127
	v_mul_f16_e32 v127, v123, v127
	s_delay_alu instid0(VALU_DEP_3) | instskip(SKIP_1) | instid1(VALU_DEP_3)
	v_mul_f16_e32 v111, v34, v41
	v_mul_f16_e32 v41, v39, v41
	v_fmac_f16_e32 v127, v125, v117
	s_delay_alu instid0(VALU_DEP_3) | instskip(NEXT) | instid1(VALU_DEP_3)
	v_fma_f16 v39, v39, v33, -v111
	v_fmac_f16_e32 v41, v34, v33
	v_add_nc_u32_e32 v33, 0x300, v45
	v_add_nc_u32_e32 v34, 0xc00, v45
	s_delay_alu instid0(VALU_DEP_3)
	v_pack_b32_f16 v39, v39, v41
	v_add_nc_u32_e32 v41, 0x800, v45
	ds_store_b32 v45, v39
	ds_load_2addr_b32 v[111:112], v33 offset0:42 offset1:237
	ds_load_2addr_b32 v[113:114], v34 offset0:90 offset1:207
	;; [unrolled: 1-line block ×3, first 2 shown]
	v_lshrrev_b32_e32 v39, 16, v44
	s_delay_alu instid0(VALU_DEP_1) | instskip(SKIP_1) | instid1(VALU_DEP_2)
	v_mul_f16_e64 v129, v124, v39
	v_mul_f16_e32 v39, v40, v39
	v_fma_f16 v40, v40, v44, -v129
	s_delay_alu instid0(VALU_DEP_2)
	v_fmac_f16_e32 v39, v124, v44
	v_fma_f16 v44, v123, v117, -v130
	s_wait_loadcnt 0x0
	v_lshrrev_b32_e32 v123, 16, v122
	v_lshrrev_b32_e32 v117, 16, v120
	;; [unrolled: 1-line block ×3, first 2 shown]
	v_pack_b32_f16 v39, v40, v39
	v_pack_b32_f16 v40, v44, v127
	s_wait_dscnt 0x2
	v_lshrrev_b32_e32 v44, 16, v112
	v_mul_f16_e32 v125, v112, v126
	s_wait_dscnt 0x1
	v_lshrrev_b32_e32 v127, 16, v113
	v_mul_f16_e64 v129, v113, v128
	s_wait_dscnt 0x0
	v_lshrrev_b32_e32 v130, 16, v115
	v_lshrrev_b32_e32 v135, 16, v111
	;; [unrolled: 1-line block ×4, first 2 shown]
	v_mul_f16_e64 v132, v115, v131
	v_mul_f16_e32 v126, v44, v126
	v_fmac_f16_e32 v125, v44, v42
	v_mul_f16_e64 v44, v127, v128
	v_fmac_f16_e64 v129, v127, v118
	v_mul_f16_e64 v127, v130, v131
	v_mul_f16_e64 v136, v111, v123
	v_mul_f16_e64 v123, v135, v123
	v_mul_f16_e64 v134, v114, v117
	v_mul_f16_e64 v138, v116, v124
	v_mul_f16_e64 v117, v133, v117
	v_mul_f16_e64 v124, v137, v124
	v_fmac_f16_e64 v132, v130, v119
	v_fma_f16 v42, v112, v42, -v126
	v_fma_f16 v112, v115, v119, -v127
	v_fmac_f16_e64 v136, v135, v122
	v_fma_f16 v111, v111, v122, -v123
	v_fmac_f16_e64 v138, v137, v121
	v_fma_f16 v44, v113, v118, -v44
	v_fma_f16 v113, v114, v120, -v117
	;; [unrolled: 1-line block ×3, first 2 shown]
	v_fmac_f16_e64 v134, v133, v120
	v_pack_b32_f16 v42, v42, v125
	v_pack_b32_f16 v112, v112, v132
	;; [unrolled: 1-line block ×6, first 2 shown]
	ds_store_2addr_b32 v37, v42, v112 offset0:45 offset1:162
	ds_store_2addr_b32 v45, v39, v111 offset0:117 offset1:234
	;; [unrolled: 1-line block ×4, first 2 shown]
	s_and_saveexec_b32 s1, vcc_lo
	s_cbranch_execz .LBB0_17
; %bb.16:
	s_wait_alu 0xfffe
	v_add_co_u32 v37, s2, s2, v45
	s_wait_alu 0xf1ff
	v_add_co_ci_u32_e64 v38, null, s3, 0, s2
	s_clause 0x2
	global_load_b32 v35, v[37:38], off offset:1404
	global_load_b32 v39, v[37:38], off offset:3120
	;; [unrolled: 1-line block ×3, first 2 shown]
	ds_load_b32 v38, v45 offset:1404
	ds_load_b32 v40, v45 offset:3120
	;; [unrolled: 1-line block ×3, first 2 shown]
	s_wait_dscnt 0x2
	v_lshrrev_b32_e32 v44, 16, v38
	s_wait_dscnt 0x1
	v_lshrrev_b32_e32 v112, 16, v40
	s_wait_dscnt 0x0
	v_lshrrev_b32_e32 v114, 16, v42
	s_wait_loadcnt 0x2
	v_lshrrev_b32_e32 v111, 16, v35
	s_wait_loadcnt 0x1
	v_lshrrev_b32_e32 v113, 16, v39
	s_wait_loadcnt 0x0
	v_lshrrev_b32_e32 v115, 16, v37
	v_mul_f16_e32 v116, v44, v111
	v_mul_f16_e32 v111, v38, v111
	;; [unrolled: 1-line block ×6, first 2 shown]
	v_fma_f16 v38, v38, v35, -v116
	v_fmac_f16_e32 v111, v44, v35
	v_fma_f16 v35, v40, v39, -v117
	v_fmac_f16_e32 v113, v112, v39
	;; [unrolled: 2-line block ×3, first 2 shown]
	v_pack_b32_f16 v37, v38, v111
	s_delay_alu instid0(VALU_DEP_4) | instskip(NEXT) | instid1(VALU_DEP_3)
	v_pack_b32_f16 v35, v35, v113
	v_pack_b32_f16 v38, v39, v115
	ds_store_b32 v45, v37 offset:1404
	ds_store_b32 v45, v35 offset:3120
	;; [unrolled: 1-line block ×3, first 2 shown]
.LBB0_17:
	s_wait_alu 0xfffe
	s_or_b32 exec_lo, exec_lo, s1
	global_wb scope:SCOPE_SE
	s_wait_dscnt 0x0
	s_barrier_signal -1
	s_barrier_wait -1
	global_inv scope:SCOPE_SE
	ds_load_2addr_b32 v[39:40], v45 offset1:117
	ds_load_2addr_b32 v[37:38], v33 offset0:42 offset1:237
	ds_load_2addr_b32 v[34:35], v34 offset0:90 offset1:207
	ds_load_2addr_b32 v[41:42], v41 offset0:34 offset1:151
	ds_load_b32 v111, v45 offset:4368
	s_and_saveexec_b32 s1, vcc_lo
	s_cbranch_execz .LBB0_19
; %bb.18:
	ds_load_b32 v36, v45 offset:1404
	ds_load_b32 v109, v45 offset:3120
	;; [unrolled: 1-line block ×3, first 2 shown]
	s_wait_dscnt 0x2
	v_lshrrev_b32_e32 v108, 16, v36
	s_wait_dscnt 0x1
	v_lshrrev_b32_e32 v110, 16, v109
	s_wait_dscnt 0x0
	v_lshrrev_b32_e32 v107, 16, v43
.LBB0_19:
	s_wait_alu 0xfffe
	s_or_b32 exec_lo, exec_lo, s1
	s_wait_dscnt 0x2
	v_pk_add_f16 v33, v38, v34
	v_pk_add_f16 v44, v38, v34 neg_lo:[0,1] neg_hi:[0,1]
	v_pk_add_f16 v38, v39, v38
	s_wait_dscnt 0x1
	v_pk_add_f16 v112, v40, v41
	global_wb scope:SCOPE_SE
	s_wait_dscnt 0x0
	v_pk_fma_f16 v113, v33, 0.5, v39 op_sel_hi:[1,0,1] neg_lo:[1,0,0] neg_hi:[1,0,0]
	v_pk_mul_f16 v114, 0x3aee, v44 op_sel_hi:[0,1]
	v_pk_add_f16 v39, v41, v35
	v_pk_add_f16 v44, v42, v111
	;; [unrolled: 1-line block ×3, first 2 shown]
	v_pk_add_f16 v38, v42, v111 neg_lo:[0,1] neg_hi:[0,1]
	v_pk_add_f16 v41, v41, v35 neg_lo:[0,1] neg_hi:[0,1]
	v_pk_fma_f16 v115, v39, 0.5, v40 op_sel_hi:[1,0,1] neg_lo:[1,0,0] neg_hi:[1,0,0]
	v_pk_add_f16 v39, v37, v42
	v_pk_fma_f16 v37, v44, 0.5, v37 op_sel_hi:[1,0,1] neg_lo:[1,0,0] neg_hi:[1,0,0]
	v_pk_mul_f16 v117, 0x3aee, v38 op_sel_hi:[0,1]
	v_pk_add_f16 v44, v112, v35
	v_add_f16_e32 v35, v109, v43
	v_add_f16_e32 v38, v110, v107
	;; [unrolled: 1-line block ×3, first 2 shown]
	v_pk_mul_f16 v116, 0x3aee, v41 op_sel_hi:[0,1]
	v_pk_add_f16 v39, v39, v111
	v_fmac_f16_e32 v36, -0.5, v35
	v_sub_f16_e32 v111, v110, v107
	v_add_f16_e32 v110, v108, v110
	v_fmac_f16_e32 v108, -0.5, v38
	v_sub_f16_e32 v112, v109, v43
	v_pk_add_f16 v34, v113, v114 op_sel:[0,1] op_sel_hi:[1,0] neg_lo:[0,1] neg_hi:[0,1]
	v_add_f16_e32 v38, v42, v43
	v_pk_add_f16 v43, v113, v114 op_sel:[0,1] op_sel_hi:[1,0]
	v_pk_add_f16 v41, v115, v116 op_sel:[0,1] op_sel_hi:[1,0] neg_lo:[0,1] neg_hi:[0,1]
	v_pk_add_f16 v42, v115, v116 op_sel:[0,1] op_sel_hi:[1,0]
	v_pk_add_f16 v40, v37, v117 op_sel:[0,1] op_sel_hi:[1,0] neg_lo:[0,1] neg_hi:[0,1]
	v_fmamk_f16 v35, v111, 0xbaee, v36
	v_fmac_f16_e32 v36, 0x3aee, v111
	v_add_f16_e32 v109, v110, v107
	v_fmamk_f16 v107, v112, 0x3aee, v108
	v_fmac_f16_e32 v108, 0xbaee, v112
	v_pk_add_f16 v37, v37, v117 op_sel:[0,1] op_sel_hi:[1,0]
	v_bfi_b32 v110, 0xffff, v43, v34
	v_bfi_b32 v111, 0xffff, v34, v43
	;; [unrolled: 1-line block ×4, first 2 shown]
	s_barrier_signal -1
	s_barrier_wait -1
	global_inv scope:SCOPE_SE
	v_bfi_b32 v114, 0xffff, v37, v40
	v_bfi_b32 v115, 0xffff, v40, v37
	ds_store_b32 v67, v33
	ds_store_2addr_b32 v67, v111, v110 offset0:1 offset1:2
	ds_store_b32 v70, v44
	ds_store_2addr_b32 v70, v113, v112 offset0:1 offset1:2
	;; [unrolled: 2-line block ×3, first 2 shown]
	s_and_saveexec_b32 s1, vcc_lo
	s_cbranch_execz .LBB0_21
; %bb.20:
	v_lshlrev_b32_e32 v67, 2, v69
	v_perm_b32 v69, v107, v35, 0x5040100
	v_perm_b32 v70, v109, v38, 0x5040100
	;; [unrolled: 1-line block ×3, first 2 shown]
	ds_store_2addr_b32 v67, v70, v69 offset1:1
	ds_store_b32 v67, v71 offset:8
.LBB0_21:
	s_wait_alu 0xfffe
	s_or_b32 exec_lo, exec_lo, s1
	v_lshrrev_b32_e32 v67, 16, v34
	v_lshrrev_b32_e32 v112, 16, v41
	;; [unrolled: 1-line block ×6, first 2 shown]
	global_wb scope:SCOPE_SE
	s_wait_dscnt 0x0
	s_barrier_signal -1
	s_barrier_wait -1
	global_inv scope:SCOPE_SE
	s_and_saveexec_b32 s1, s0
	s_cbranch_execz .LBB0_23
; %bb.22:
	v_add_nc_u32_e32 v35, 0x200, v45
	v_add_nc_u32_e32 v36, 0x400, v45
	;; [unrolled: 1-line block ×4, first 2 shown]
	ds_load_2addr_b32 v[33:34], v45 offset1:99
	ds_load_2addr_b32 v[43:44], v35 offset0:70 offset1:169
	v_add_nc_u32_e32 v35, 0xe00, v45
	ds_load_2addr_b32 v[41:42], v36 offset0:140 offset1:239
	ds_load_2addr_b32 v[39:40], v37 offset0:82 offset1:181
	;; [unrolled: 1-line block ×4, first 2 shown]
	ds_load_b32 v105, v45 offset:4752
	s_wait_dscnt 0x6
	v_lshrrev_b32_e32 v69, 16, v34
	s_wait_dscnt 0x5
	v_lshrrev_b32_e32 v67, 16, v43
	;; [unrolled: 2-line block ×3, first 2 shown]
	v_lshrrev_b32_e32 v112, 16, v42
	s_wait_dscnt 0x3
	v_lshrrev_b32_e32 v111, 16, v40
	s_wait_dscnt 0x2
	v_lshrrev_b32_e32 v110, 16, v37
	v_lshrrev_b32_e32 v109, 16, v38
	s_wait_dscnt 0x1
	v_lshrrev_b32_e32 v107, 16, v35
	;; [unrolled: 3-line block ×3, first 2 shown]
.LBB0_23:
	s_wait_alu 0xfffe
	s_or_b32 exec_lo, exec_lo, s1
	v_mul_f16_e32 v70, v82, v69
	v_lshrrev_b32_e32 v114, 16, v44
	v_mul_f16_e32 v115, v82, v34
	v_mul_f16_e32 v82, v81, v67
	;; [unrolled: 1-line block ×3, first 2 shown]
	v_fmac_f16_e32 v70, v4, v34
	v_mul_f16_e32 v71, v80, v114
	v_mul_f16_e32 v34, v80, v44
	v_fmac_f16_e32 v82, v5, v43
	v_fma_f16 v67, v5, v67, -v81
	v_mul_f16_e32 v5, v79, v41
	v_fma_f16 v69, v4, v69, -v115
	v_fmac_f16_e32 v71, v6, v44
	v_fma_f16 v43, v6, v114, -v34
	v_mul_f16_e32 v44, v79, v113
	v_lshrrev_b32_e32 v4, 16, v39
	v_mul_f16_e32 v80, v78, v112
	v_mul_f16_e32 v6, v78, v42
	v_fma_f16 v78, v7, v113, -v5
	v_mul_f16_e32 v5, v77, v39
	v_fmac_f16_e32 v44, v7, v41
	v_mul_f16_e32 v79, v77, v4
	v_fmac_f16_e32 v80, v8, v42
	v_fma_f16 v41, v8, v112, -v6
	v_mul_f16_e32 v77, v76, v111
	v_mul_f16_e32 v6, v76, v40
	;; [unrolled: 1-line block ×3, first 2 shown]
	v_fma_f16 v42, v9, v4, -v5
	v_mul_f16_e32 v4, v75, v37
	v_mul_f16_e32 v5, v73, v105
	v_fmac_f16_e32 v79, v9, v39
	v_fmac_f16_e32 v76, v11, v37
	v_mul_f16_e32 v75, v74, v109
	v_fma_f16 v39, v11, v110, -v4
	v_mul_f16_e32 v4, v74, v38
	v_mul_f16_e32 v37, v73, v106
	v_fma_f16 v5, v3, v106, -v5
	v_fmac_f16_e32 v75, v0, v38
	v_fmac_f16_e32 v77, v10, v40
	v_fma_f16 v38, v0, v109, -v4
	v_fmac_f16_e32 v37, v3, v105
	v_sub_f16_e32 v109, v69, v5
	v_fma_f16 v40, v10, v111, -v6
	v_mul_f16_e32 v73, v68, v108
	v_add_f16_e32 v112, v5, v69
	v_mul_f16_e32 v6, v68, v36
	v_add_f16_e32 v0, v37, v70
	v_mul_f16_e32 v113, 0xba95, v109
	v_mul_f16_e32 v74, v72, v107
	;; [unrolled: 1-line block ×3, first 2 shown]
	v_sub_f16_e32 v3, v70, v37
	v_mul_f16_e32 v116, 0x388b, v112
	v_fmac_f16_e32 v73, v2, v36
	v_fma_f16 v36, v2, v108, -v6
	v_fma_f16 v2, v0, 0x388b, -v113
	v_mul_f16_e32 v120, 0xbbf1, v109
	v_fmac_f16_e32 v74, v1, v35
	v_fma_f16 v68, v1, v107, -v4
	v_fmamk_f16 v4, v3, 0xba95, v116
	v_lshrrev_b32_e32 v1, 16, v33
	v_add_f16_e32 v6, v33, v2
	v_mul_f16_e64 v132, 0xbb7b, v109
	v_fma_f16 v2, v0, 0x2fb7, -v120
	v_sub_f16_e32 v110, v67, v36
	v_mul_f16_e32 v126, 0x2fb7, v112
	v_add_f16_e32 v8, v1, v4
	v_fma_f16 v4, v0, 0xb5ac, -v132
	v_add_f16_e32 v9, v33, v2
	v_add_f16_e32 v115, v36, v67
	;; [unrolled: 1-line block ×3, first 2 shown]
	v_mul_f16_e32 v118, 0xbb7b, v110
	v_fmamk_f16 v7, v3, 0xbbf1, v126
	v_mul_f16_e64 v138, 0xb5ac, v112
	v_add_f16_e32 v11, v33, v4
	v_sub_f16_e32 v4, v82, v73
	v_mul_f16_e32 v122, 0xb5ac, v115
	v_mul_f16_e32 v127, 0xb3a8, v110
	v_fma_f16 v34, v2, 0xb5ac, -v118
	v_mul_f16_e64 v133, 0xbbc4, v115
	v_add_f16_e32 v7, v1, v7
	v_fma_f16 v10, 0xbb7b, v3, v138
	v_mul_f16_e64 v139, 0x394e, v110
	v_fmamk_f16 v35, v4, 0xbb7b, v122
	v_fma_f16 v72, v2, 0xbbc4, -v127
	v_add_f16_e32 v34, v34, v6
	v_fma_f16 v6, 0xb3a8, v4, v133
	v_mul_f16_e64 v143, 0xb9fd, v115
	v_sub_f16_e32 v111, v43, v68
	v_add_f16_e32 v119, v68, v43
	v_add_f16_e32 v10, v1, v10
	v_fma_f16 v81, v2, 0xb9fd, -v139
	v_add_f16_e32 v8, v35, v8
	v_add_f16_e32 v9, v72, v9
	;; [unrolled: 1-line block ×3, first 2 shown]
	v_fma_f16 v72, 0x394e, v4, v143
	v_add_f16_e32 v6, v74, v71
	v_sub_f16_e32 v7, v71, v74
	v_mul_f16_e32 v121, 0xb3a8, v111
	v_mul_f16_e64 v130, 0xbbc4, v119
	v_add_f16_e32 v11, v81, v11
	v_add_f16_e32 v10, v72, v10
	v_mul_f16_e64 v137, 0xb5ac, v119
	v_fma_f16 v72, v6, 0xbbc4, -v121
	v_fma_f16 v81, 0xb3a8, v7, v130
	v_mul_f16_e64 v146, 0x3770, v111
	v_add_f16_e32 v124, v38, v78
	v_mul_f16_e64 v131, 0x3b7b, v111
	v_fma_f16 v106, 0x3b7b, v7, v137
	v_add_f16_e32 v34, v72, v34
	v_add_f16_e32 v8, v81, v8
	v_fma_f16 v72, v6, 0x3b15, -v146
	v_sub_f16_e32 v114, v78, v38
	v_sub_f16_e32 v81, v44, v75
	v_mul_f16_e64 v142, 0x3b15, v124
	v_fma_f16 v105, v6, 0xb5ac, -v131
	v_add_f16_e32 v35, v106, v35
	v_mul_f16_e64 v148, 0x3b15, v119
	v_add_f16_e32 v11, v72, v11
	v_add_f16_e32 v72, v75, v44
	v_mul_f16_e64 v128, 0x394e, v114
	v_fma_f16 v117, 0x3770, v81, v142
	v_add_f16_e32 v9, v105, v9
	v_mul_f16_e64 v134, 0xb9fd, v124
	v_mul_f16_e64 v140, 0x3770, v114
	v_fma_f16 v105, 0x3770, v7, v148
	v_fma_f16 v106, v72, 0xb9fd, -v128
	v_add_f16_e32 v35, v117, v35
	v_sub_f16_e32 v117, v41, v39
	v_add_f16_e32 v125, v39, v41
	v_fma_f16 v107, 0x394e, v81, v134
	v_fma_f16 v108, v72, 0x3b15, -v140
	v_add_f16_e32 v10, v105, v10
	v_add_f16_e32 v34, v106, v34
	v_mul_f16_e64 v150, 0xbbf1, v114
	v_mul_f16_e64 v152, 0x2fb7, v124
	v_add_f16_e32 v105, v76, v80
	v_sub_f16_e32 v106, v80, v76
	v_mul_f16_e64 v135, 0x3bf1, v117
	v_mul_f16_e64 v141, 0x2fb7, v125
	v_add_f16_e32 v8, v107, v8
	v_add_f16_e32 v9, v108, v9
	v_fma_f16 v107, v72, 0x2fb7, -v150
	v_mul_f16_e64 v144, 0xba95, v117
	v_fma_f16 v108, 0xbbf1, v81, v152
	v_fma_f16 v123, v105, 0x2fb7, -v135
	v_fma_f16 v129, 0x3bf1, v106, v141
	v_mul_f16_e64 v153, 0x33a8, v117
	v_mul_f16_e64 v155, 0xbbc4, v125
	v_add_f16_e32 v11, v107, v11
	v_fma_f16 v107, v105, 0x388b, -v144
	v_add_f16_e32 v10, v108, v10
	v_add_f16_e32 v34, v123, v34
	v_add_f16_e64 v8, v129, v8
	v_mul_f16_e64 v147, 0x388b, v125
	v_sub_f16_e32 v123, v42, v40
	v_fma_f16 v108, v105, 0xbbc4, -v153
	v_fma_f16 v145, 0x33a8, v106, v155
	v_add_f16_e64 v129, v40, v42
	v_add_f16_e64 v157, v107, v9
	v_fma_f16 v9, 0xba95, v106, v147
	v_add_f16_e32 v107, v77, v79
	v_mul_f16_e64 v136, 0x3770, v123
	v_add_f16_e64 v158, v108, v11
	v_add_f16_e64 v10, v145, v10
	v_sub_f16_e32 v108, v79, v77
	v_mul_f16_e64 v145, 0x3b15, v129
	v_mul_f16_e64 v149, 0xb94e, v123
	;; [unrolled: 1-line block ×5, first 2 shown]
	v_add_f16_e32 v35, v9, v35
	v_fma_f16 v9, v107, 0x3b15, -v136
	v_fma_f16 v11, 0x3770, v108, v145
	v_fma_f16 v159, v107, 0xb9fd, -v149
	v_fma_f16 v160, 0xb94e, v108, v151
	;; [unrolled: 2-line block ×3, first 2 shown]
	v_add_f16_e32 v9, v9, v34
	v_add_f16_e32 v34, v11, v8
	v_add_f16_e64 v11, v159, v157
	v_add_f16_e64 v35, v160, v35
	v_add_f16_e64 v8, v161, v158
	v_add_f16_e64 v10, v162, v10
	global_wb scope:SCOPE_SE
	s_barrier_signal -1
	s_barrier_wait -1
	global_inv scope:SCOPE_SE
	s_and_saveexec_b32 s1, s0
	s_cbranch_execz .LBB0_25
; %bb.24:
	v_add_f16_e32 v70, v33, v70
	v_mul_f16_e64 v197, 0xb3a8, v109
	v_mul_f16_e64 v213, 0xb94e, v109
	v_mul_f16_e32 v109, 0xb770, v109
	v_add_f16_e32 v69, v69, v1
	v_add_f16_e32 v70, v82, v70
	v_mul_f16_e64 v201, 0x3770, v110
	v_mul_f16_e64 v215, 0x3bf1, v110
	v_mul_f16_e32 v110, 0xba95, v110
	v_add_f16_e32 v67, v67, v69
	v_add_f16_e32 v70, v71, v70
	v_fmamk_f16 v71, v0, 0x3b15, v109
	v_mul_f16_e64 v183, 0xbbc4, v112
	v_mul_f16_e64 v189, 0x3b15, v115
	v_add_f16_e32 v43, v43, v67
	v_add_f16_e32 v44, v44, v70
	;; [unrolled: 1-line block ×3, first 2 shown]
	v_fmamk_f16 v70, v2, 0x388b, v110
	v_mul_f16_e32 v71, 0xbbf1, v111
	v_add_f16_e32 v43, v78, v43
	v_add_f16_e32 v44, v80, v44
	v_mul_f16_e32 v78, 0xbb7b, v114
	v_add_f16_e32 v69, v70, v69
	v_fmamk_f16 v70, v6, 0x2fb7, v71
	v_fma_f16 v188, 0x33a8, v3, v183
	v_add_f16_e32 v44, v79, v44
	v_add_f16_e32 v41, v41, v43
	v_fmamk_f16 v43, v72, 0xb5ac, v78
	v_add_f16_e32 v69, v70, v69
	v_mul_f16_e32 v70, 0xb94e, v117
	v_add_f16_e32 v44, v77, v44
	v_add_f16_e64 v188, v1, v188
	v_fma_f16 v193, 0xb770, v4, v189
	v_mul_f16_e64 v194, 0xb9fd, v119
	v_mul_f16_e64 v159, 0x2fb7, v0
	v_add_f16_e32 v44, v76, v44
	v_add_f16_e32 v41, v42, v41
	;; [unrolled: 1-line block ×3, first 2 shown]
	v_fmamk_f16 v43, v105, 0xb9fd, v70
	v_mul_f16_e32 v69, 0xb3a8, v123
	v_add_f16_e32 v44, v75, v44
	v_add_f16_e64 v188, v193, v188
	v_fma_f16 v193, 0x394e, v7, v194
	v_mul_f16_e64 v198, 0x388b, v124
	v_fma_f16 v200, 0xbbc4, v0, v197
	v_mul_f16_e64 v158, 0xba95, v3
	v_mul_f16_e64 v165, 0xbbc4, v2
	v_add_f16_e64 v120, v159, v120
	v_add_f16_e32 v40, v40, v41
	v_fmac_f16_e64 v183, 0xb3a8, v3
	v_add_f16_e32 v41, v43, v42
	v_fmamk_f16 v42, v107, 0xbbc4, v69
	v_add_f16_e32 v43, v74, v44
	v_add_f16_e64 v188, v193, v188
	v_fma_f16 v193, 0xba95, v81, v198
	v_mul_f16_e64 v202, 0xb5ac, v125
	v_add_f16_e64 v200, v33, v200
	v_fma_f16 v203, 0x3b15, v2, v201
	v_mul_f16_e64 v204, 0xb94e, v111
	v_mul_f16_e64 v164, 0xbb7b, v4
	;; [unrolled: 1-line block ×3, first 2 shown]
	v_add_f16_e32 v120, v33, v120
	v_add_f16_e64 v127, v165, v127
	v_sub_f16_e64 v116, v116, v158
	v_add_f16_e32 v39, v39, v40
	v_add_f16_e64 v40, v1, v183
	v_fmac_f16_e64 v189, 0x3770, v4
	v_add_f16_e32 v41, v42, v41
	v_add_f16_e32 v42, v73, v43
	v_fma_f16 v43, v0, 0xbbc4, -v197
	v_add_f16_e64 v188, v193, v188
	v_fma_f16 v193, 0x3b7b, v106, v202
	v_mul_f16_e64 v205, 0x2fb7, v129
	v_add_f16_e64 v200, v203, v200
	v_fma_f16 v203, 0xb9fd, v6, v204
	v_mul_f16_e64 v206, 0x3a95, v114
	v_mul_f16_e64 v157, 0x388b, v0
	;; [unrolled: 1-line block ×4, first 2 shown]
	v_add_f16_e32 v120, v127, v120
	v_add_f16_e64 v127, v171, v131
	v_add_f16_e32 v116, v1, v116
	v_sub_f16_e64 v122, v122, v164
	v_add_f16_e32 v38, v38, v39
	v_add_f16_e64 v39, v189, v40
	v_add_f16_e32 v37, v37, v42
	v_add_f16_e32 v40, v33, v43
	v_fma_f16 v42, v2, 0x3b15, -v201
	v_add_f16_e64 v188, v193, v188
	v_fma_f16 v193, 0xbbf1, v108, v205
	v_mul_f16_e64 v207, 0xb9fd, v112
	v_add_f16_e64 v200, v203, v200
	v_fma_f16 v203, 0x388b, v72, v206
	v_mul_f16_e64 v208, 0xbb7b, v117
	v_mul_f16_e64 v163, 0xb5ac, v2
	;; [unrolled: 1-line block ×4, first 2 shown]
	v_add_f16_e32 v120, v127, v120
	v_add_f16_e64 v127, v177, v140
	v_add_f16_e32 v116, v122, v116
	v_sub_f16_e64 v122, v130, v170
	v_add_f16_e64 v113, v157, v113
	v_add_f16_e32 v38, v68, v38
	v_add_f16_e32 v40, v42, v40
	v_fma_f16 v42, v6, 0xb9fd, -v204
	v_add_f16_e64 v188, v193, v188
	v_fma_f16 v193, 0x394e, v3, v207
	v_mul_f16_e64 v209, 0x2fb7, v115
	v_add_f16_e64 v200, v203, v200
	v_fma_f16 v203, 0xb5ac, v105, v208
	v_mul_f16_e64 v210, 0x3bf1, v123
	v_mul_f16_e64 v169, 0xbbc4, v6
	;; [unrolled: 1-line block ×4, first 2 shown]
	v_add_f16_e32 v120, v127, v120
	v_add_f16_e64 v127, v184, v144
	v_add_f16_e32 v116, v122, v116
	v_sub_f16_e64 v122, v134, v176
	v_add_f16_e32 v113, v33, v113
	v_add_f16_e64 v118, v163, v118
	v_mul_f16_e32 v112, 0x3b15, v112
	v_mul_f16_e64 v160, 0xbbf1, v3
	v_add_f16_e32 v36, v36, v38
	v_add_f16_e32 v40, v42, v40
	v_fma_f16 v42, v72, 0x388b, -v206
	v_mul_f16_e64 v161, 0xb5ac, v0
	v_mul_f16_e64 v162, 0xbb7b, v3
	v_add_f16_e64 v193, v1, v193
	v_fma_f16 v211, 0xbbf1, v4, v209
	v_mul_f16_e64 v212, 0x388b, v119
	v_add_f16_e64 v200, v203, v200
	v_fma_f16 v203, 0x2fb7, v107, v210
	v_mul_f16_e64 v175, 0xb9fd, v72
	v_mul_f16_e64 v191, 0x3770, v108
	v_add_f16_e32 v120, v127, v120
	v_add_f16_e64 v127, v192, v149
	v_add_f16_e32 v116, v122, v116
	v_sub_f16_e64 v122, v141, v182
	v_add_f16_e32 v113, v118, v113
	v_add_f16_e64 v118, v169, v121
	v_fmamk_f16 v121, v3, 0x3770, v112
	v_mul_f16_e32 v115, 0x388b, v115
	v_mul_f16_e64 v166, 0xb3a8, v4
	v_sub_f16_e64 v126, v126, v160
	v_add_f16_e32 v5, v5, v36
	v_add_f16_e32 v36, v42, v40
	v_fma_f16 v40, v105, 0xb5ac, -v208
	v_mul_f16_e64 v167, 0xb9fd, v2
	v_mul_f16_e64 v168, 0x394e, v4
	v_add_f16_e64 v193, v211, v193
	v_fma_f16 v211, 0x3a95, v7, v212
	v_mul_f16_e64 v214, 0xbbc4, v124
	v_add_f16_e64 v200, v203, v200
	v_fma_f16 v203, 0xb9fd, v0, v213
	v_sub_f16_e64 v138, v138, v162
	v_add_f16_e64 v132, v161, v132
	v_mul_f16_e64 v181, 0x2fb7, v105
	v_add_f16_e32 v120, v127, v120
	v_add_f16_e32 v116, v122, v116
	;; [unrolled: 1-line block ×3, first 2 shown]
	v_add_f16_e64 v118, v175, v128
	v_sub_f16_e64 v122, v145, v191
	v_add_f16_e32 v121, v1, v121
	v_fmamk_f16 v127, v4, 0x3a95, v115
	v_mul_f16_e32 v119, 0x2fb7, v119
	v_mul_f16_e64 v172, 0x3b7b, v7
	v_add_f16_e32 v126, v1, v126
	v_sub_f16_e64 v133, v133, v166
	v_fmac_f16_e64 v207, 0xb94e, v3
	v_add_f16_e32 v36, v40, v36
	v_fma_f16 v40, v107, 0x2fb7, -v210
	v_fma_f16 v42, v0, 0xb9fd, -v213
	v_fmac_f16_e32 v112, 0xb770, v3
	v_fma_f16 v0, v0, 0x3b15, -v109
	v_mul_f16_e64 v173, 0x3b15, v6
	v_mul_f16_e64 v174, 0x3770, v7
	v_add_f16_e64 v193, v211, v193
	v_fma_f16 v211, 0xb3a8, v81, v214
	v_mul_f16_e64 v216, 0x3b15, v125
	v_add_f16_e64 v203, v33, v203
	v_fma_f16 v217, 0x2fb7, v2, v215
	v_mul_f16_e64 v218, 0xba95, v111
	v_add_f16_e64 v138, v1, v138
	v_sub_f16_e64 v143, v143, v168
	v_add_f16_e64 v132, v33, v132
	v_add_f16_e64 v139, v167, v139
	v_mul_f16_e64 v190, 0x3b15, v107
	v_add_f16_e32 v113, v118, v113
	v_add_f16_e64 v118, v181, v135
	v_add_f16_e32 v116, v122, v116
	v_add_f16_e32 v121, v127, v121
	v_fmamk_f16 v122, v7, 0x3bf1, v119
	v_mul_f16_e32 v124, 0xb5ac, v124
	v_mul_f16_e64 v178, 0x3770, v81
	v_add_f16_e64 v126, v133, v126
	v_sub_f16_e64 v133, v137, v172
	v_add_f16_e64 v38, v1, v207
	v_fmac_f16_e64 v209, 0x3bf1, v4
	v_add_f16_e32 v36, v40, v36
	v_add_f16_e32 v40, v33, v42
	v_fma_f16 v42, v2, 0x2fb7, -v215
	v_add_f16_e32 v1, v1, v112
	v_fmac_f16_e32 v115, 0xba95, v4
	v_add_f16_e32 v0, v33, v0
	v_fma_f16 v2, v2, 0x388b, -v110
	v_mul_f16_e64 v179, 0x2fb7, v72
	v_mul_f16_e64 v180, 0xbbf1, v81
	v_add_f16_e64 v193, v211, v193
	v_fma_f16 v211, 0xb770, v106, v216
	v_mul_f16_e64 v219, 0xb5ac, v129
	v_add_f16_e64 v203, v217, v203
	v_fma_f16 v217, 0x388b, v6, v218
	v_mul_f16_e64 v220, 0x33a8, v114
	v_add_f16_e64 v138, v143, v138
	v_sub_f16_e64 v143, v148, v174
	v_add_f16_e64 v132, v139, v132
	v_add_f16_e64 v139, v173, v146
	v_add_f16_e32 v113, v118, v113
	v_add_f16_e64 v118, v190, v136
	v_add_f16_e32 v121, v122, v121
	v_fmamk_f16 v122, v81, 0x3b7b, v124
	v_mul_f16_e32 v125, 0xb9fd, v125
	v_fmac_f16_e64 v194, 0xb94e, v7
	v_mul_f16_e64 v185, 0xba95, v106
	v_add_f16_e64 v126, v133, v126
	v_sub_f16_e64 v133, v142, v178
	v_add_f16_e64 v38, v209, v38
	v_fmac_f16_e64 v212, 0xba95, v7
	v_add_f16_e32 v3, v42, v40
	v_fma_f16 v40, v6, 0x388b, -v218
	v_add_f16_e32 v1, v115, v1
	v_fmac_f16_e32 v119, 0xbbf1, v7
	v_add_f16_e32 v0, v2, v0
	v_fma_f16 v2, v6, 0x2fb7, -v71
	v_mul_f16_e64 v186, 0xbbc4, v105
	v_mul_f16_e64 v187, 0x33a8, v106
	v_add_f16_e64 v162, v211, v193
	v_fma_f16 v193, 0x3b7b, v108, v219
	v_add_f16_e64 v203, v217, v203
	v_fma_f16 v211, 0xbbc4, v72, v220
	v_mul_f16_e64 v168, 0x3770, v117
	v_add_f16_e64 v138, v143, v138
	v_sub_f16_e64 v143, v152, v180
	v_add_f16_e64 v132, v139, v132
	v_add_f16_e64 v139, v179, v150
	v_add_f16_e32 v82, v118, v113
	v_add_f16_e32 v113, v122, v121
	v_fmamk_f16 v118, v106, 0x394e, v125
	v_mul_f16_e64 v67, 0xbbc4, v129
	v_add_f16_e64 v39, v194, v39
	v_fmac_f16_e64 v198, 0x3a95, v81
	v_mul_f16_e64 v195, 0xb94e, v108
	v_add_f16_e64 v126, v133, v126
	v_sub_f16_e64 v131, v147, v185
	v_add_f16_e64 v38, v212, v38
	v_fmac_f16_e64 v214, 0x33a8, v81
	v_add_f16_e32 v3, v40, v3
	v_fma_f16 v4, v72, 0xbbc4, -v220
	v_add_f16_e32 v1, v119, v1
	v_fmac_f16_e32 v124, 0xbb7b, v81
	v_add_f16_e32 v0, v2, v0
	v_fma_f16 v2, v72, 0xb5ac, -v78
	v_mul_f16_e64 v196, 0x388b, v107
	v_mul_f16_e64 v199, 0x3a95, v108
	v_add_f16_e64 v162, v193, v162
	v_add_f16_e64 v193, v211, v203
	v_fma_f16 v148, 0x3b15, v105, v168
	v_mul_f16_e64 v161, 0xbb7b, v123
	v_add_f16_e64 v138, v143, v138
	v_sub_f16_e64 v143, v155, v187
	v_add_f16_e64 v132, v139, v132
	v_add_f16_e64 v139, v186, v153
	v_add_f16_e32 v113, v118, v113
	v_fmamk_f16 v79, v108, 0x33a8, v67
	v_add_f16_e64 v39, v198, v39
	v_fmac_f16_e64 v202, 0xbb7b, v106
	v_add_f16_e64 v126, v131, v126
	v_sub_f16_e64 v131, v151, v195
	v_add_f16_e64 v38, v214, v38
	v_fmac_f16_e64 v216, 0x3770, v106
	v_add_f16_e32 v3, v4, v3
	v_fma_f16 v4, v105, 0x3b15, -v168
	v_add_f16_e32 v1, v124, v1
	v_fmac_f16_e32 v125, 0xb94e, v106
	v_add_f16_e32 v0, v2, v0
	v_fma_f16 v2, v105, 0xb9fd, -v70
	v_add_f16_e64 v148, v148, v193
	v_fma_f16 v152, 0xb5ac, v107, v161
	v_add_f16_e64 v138, v143, v138
	v_sub_f16_e64 v143, v156, v199
	v_add_f16_e64 v132, v139, v132
	v_add_f16_e64 v137, v196, v154
	v_add_f16_e32 v77, v79, v113
	v_add_f16_e64 v39, v202, v39
	v_fmac_f16_e64 v205, 0x3bf1, v108
	v_mul_u32_u24_e32 v7, 39, v66
	v_add_f16_e64 v126, v131, v126
	v_add_f16_e64 v38, v216, v38
	v_fmac_f16_e64 v219, 0xbb7b, v108
	v_add_f16_e32 v3, v4, v3
	v_fma_f16 v4, v107, 0xb5ac, -v161
	v_add_f16_e32 v1, v125, v1
	v_fmac_f16_e32 v67, 0xb3a8, v108
	v_add_f16_e32 v0, v2, v0
	v_fma_f16 v2, v107, 0xbbc4, -v69
	v_add_f16_e64 v146, v152, v148
	v_add_f16_e64 v138, v143, v138
	v_add_f16_e64 v132, v137, v132
	v_add_f16_e64 v39, v205, v39
	v_add_lshl_u32 v7, v7, v65, 2
	v_pack_b32_f16 v5, v37, v5
	v_pack_b32_f16 v33, v41, v77
	v_add_f16_e64 v6, v219, v38
	v_pack_b32_f16 v37, v82, v116
	v_pack_b32_f16 v38, v120, v126
	v_add_f16_e32 v3, v4, v3
	v_add_f16_e32 v1, v67, v1
	;; [unrolled: 1-line block ×3, first 2 shown]
	v_pack_b32_f16 v2, v132, v138
	v_pack_b32_f16 v4, v146, v162
	ds_store_2addr_b32 v7, v5, v33 offset1:3
	ds_store_2addr_b32 v7, v37, v38 offset0:6 offset1:9
	v_pack_b32_f16 v5, v200, v188
	v_pack_b32_f16 v33, v36, v39
	;; [unrolled: 1-line block ×3, first 2 shown]
	v_perm_b32 v6, v10, v8, 0x5040100
	v_perm_b32 v36, v35, v11, 0x5040100
	;; [unrolled: 1-line block ×3, first 2 shown]
	v_pack_b32_f16 v0, v0, v1
	ds_store_2addr_b32 v7, v2, v4 offset0:12 offset1:15
	ds_store_2addr_b32 v7, v5, v33 offset0:18 offset1:21
	;; [unrolled: 1-line block ×4, first 2 shown]
	ds_store_b32 v7, v0 offset:144
.LBB0_25:
	s_wait_alu 0xfffe
	s_or_b32 exec_lo, exec_lo, s1
	v_add_nc_u32_e32 v0, 0x300, v45
	v_add_nc_u32_e32 v4, 0xc00, v45
	;; [unrolled: 1-line block ×3, first 2 shown]
	global_wb scope:SCOPE_SE
	s_wait_dscnt 0x0
	s_barrier_signal -1
	s_barrier_wait -1
	global_inv scope:SCOPE_SE
	ds_load_2addr_b32 v[2:3], v45 offset1:117
	ds_load_2addr_b32 v[0:1], v0 offset0:42 offset1:237
	ds_load_2addr_b32 v[6:7], v4 offset0:90 offset1:207
	;; [unrolled: 1-line block ×3, first 2 shown]
	ds_load_b32 v33, v45 offset:4368
	s_and_saveexec_b32 s0, vcc_lo
	s_cbranch_execz .LBB0_27
; %bb.26:
	ds_load_b32 v8, v45 offset:1404
	ds_load_b32 v11, v45 offset:3120
	;; [unrolled: 1-line block ×3, first 2 shown]
	s_wait_dscnt 0x2
	v_lshrrev_b32_e32 v10, 16, v8
	s_wait_dscnt 0x1
	v_lshrrev_b32_e32 v35, 16, v11
	;; [unrolled: 2-line block ×3, first 2 shown]
.LBB0_27:
	s_wait_alu 0xfffe
	s_or_b32 exec_lo, exec_lo, s0
	s_wait_dscnt 0x3
	v_lshrrev_b32_e32 v37, 16, v1
	s_wait_dscnt 0x2
	v_lshrrev_b32_e32 v38, 16, v6
	;; [unrolled: 2-line block ×3, first 2 shown]
	v_mul_f16_e32 v65, v104, v1
	v_lshrrev_b32_e32 v41, 16, v7
	v_mul_f16_e32 v43, v104, v37
	v_mul_f16_e32 v67, v102, v38
	v_lshrrev_b32_e32 v44, 16, v5
	s_wait_dscnt 0x0
	v_lshrrev_b32_e32 v66, 16, v33
	v_lshrrev_b32_e32 v36, 16, v2
	v_fmac_f16_e32 v43, v29, v1
	v_mul_f16_e32 v1, v102, v6
	v_fma_f16 v29, v29, v37, -v65
	v_mul_f16_e32 v37, v103, v40
	v_fmac_f16_e32 v67, v30, v6
	v_mul_f16_e32 v6, v103, v4
	v_fma_f16 v1, v30, v38, -v1
	v_mul_f16_e32 v30, v101, v41
	;; [unrolled: 4-line block ×4, first 2 shown]
	v_fmac_f16_e32 v27, v25, v5
	v_mul_f16_e32 v5, v99, v33
	v_fma_f16 v7, v25, v44, -v7
	v_add_f16_e32 v25, v43, v67
	v_fmac_f16_e32 v28, v26, v33
	v_add_f16_e32 v33, v2, v43
	v_fma_f16 v5, v26, v66, -v5
	v_add_f16_e32 v26, v29, v1
	v_fma_f16 v2, -0.5, v25, v2
	v_sub_f16_e32 v25, v29, v1
	v_add_f16_e32 v29, v36, v29
	v_lshrrev_b32_e32 v39, 16, v3
	v_fmac_f16_e32 v36, -0.5, v26
	v_sub_f16_e32 v26, v43, v67
	v_fmamk_f16 v38, v25, 0xbaee, v2
	v_fmac_f16_e32 v2, 0x3aee, v25
	v_add_f16_e32 v25, v37, v30
	v_add_f16_e32 v1, v29, v1
	v_fmamk_f16 v29, v26, 0x3aee, v36
	v_fmac_f16_e32 v36, 0xbaee, v26
	v_add_f16_e32 v26, v6, v4
	v_add_f16_e32 v40, v3, v37
	v_fmac_f16_e32 v3, -0.5, v25
	v_sub_f16_e32 v25, v6, v4
	v_add_f16_e32 v6, v39, v6
	v_fmac_f16_e32 v39, -0.5, v26
	v_sub_f16_e32 v26, v37, v30
	v_lshrrev_b32_e32 v42, 16, v0
	v_add_f16_e32 v40, v40, v30
	v_add_f16_e32 v4, v6, v4
	;; [unrolled: 1-line block ×3, first 2 shown]
	v_fmamk_f16 v30, v25, 0xbaee, v3
	v_fmac_f16_e32 v3, 0x3aee, v25
	v_fmamk_f16 v25, v26, 0x3aee, v39
	v_fmac_f16_e32 v39, 0xbaee, v26
	v_add_f16_e32 v26, v7, v5
	v_add_f16_e32 v33, v33, v67
	;; [unrolled: 1-line block ×3, first 2 shown]
	v_fmac_f16_e32 v0, -0.5, v6
	v_sub_f16_e32 v6, v7, v5
	v_add_f16_e32 v7, v42, v7
	v_fmac_f16_e32 v42, -0.5, v26
	v_sub_f16_e32 v26, v27, v28
	v_pack_b32_f16 v1, v33, v1
	v_add_f16_e32 v27, v37, v28
	v_add_f16_e32 v5, v7, v5
	v_pack_b32_f16 v7, v38, v29
	v_fmamk_f16 v28, v6, 0xbaee, v0
	v_fmac_f16_e32 v0, 0x3aee, v6
	v_fmamk_f16 v6, v26, 0x3aee, v42
	v_fmac_f16_e32 v42, 0xbaee, v26
	global_wb scope:SCOPE_SE
	s_barrier_signal -1
	s_barrier_wait -1
	global_inv scope:SCOPE_SE
	ds_store_2addr_b32 v86, v1, v7 offset1:39
	v_pack_b32_f16 v1, v2, v36
	v_pack_b32_f16 v2, v40, v4
	;; [unrolled: 1-line block ×7, first 2 shown]
	ds_store_b32 v86, v1 offset:312
	ds_store_2addr_b32 v87, v2, v4 offset1:39
	ds_store_b32 v87, v3 offset:312
	ds_store_2addr_b32 v84, v5, v6 offset1:39
	ds_store_b32 v84, v0 offset:312
	s_and_saveexec_b32 s0, vcc_lo
	s_cbranch_execz .LBB0_29
; %bb.28:
	v_mul_f16_e32 v0, v88, v11
	v_mul_f16_e32 v1, v85, v9
	;; [unrolled: 1-line block ×4, first 2 shown]
	v_and_b32_e32 v5, 0xffff, v83
	v_fma_f16 v0, v23, v35, -v0
	v_fma_f16 v1, v24, v34, -v1
	v_fmac_f16_e32 v2, v23, v11
	v_fmac_f16_e32 v3, v24, v9
	s_delay_alu instid0(VALU_DEP_4) | instskip(NEXT) | instid1(VALU_DEP_4)
	v_add_f16_e32 v9, v10, v0
	v_add_f16_e32 v4, v0, v1
	v_sub_f16_e32 v0, v0, v1
	s_delay_alu instid0(VALU_DEP_4)
	v_add_f16_e32 v6, v2, v3
	v_sub_f16_e32 v7, v2, v3
	v_add_f16_e32 v2, v8, v2
	v_fma_f16 v4, -0.5, v4, v10
	v_add_f16_e32 v1, v9, v1
	v_fma_f16 v6, -0.5, v6, v8
	s_delay_alu instid0(VALU_DEP_4) | instskip(NEXT) | instid1(VALU_DEP_4)
	v_add_f16_e32 v2, v2, v3
	v_fmamk_f16 v8, v7, 0xbaee, v4
	v_fmac_f16_e32 v4, 0x3aee, v7
	s_delay_alu instid0(VALU_DEP_4) | instskip(SKIP_3) | instid1(VALU_DEP_4)
	v_fmamk_f16 v7, v0, 0x3aee, v6
	v_fmac_f16_e32 v6, 0xbaee, v0
	v_lshlrev_b32_e32 v0, 2, v5
	v_pack_b32_f16 v1, v2, v1
	v_pack_b32_f16 v3, v7, v8
	s_delay_alu instid0(VALU_DEP_4)
	v_pack_b32_f16 v2, v6, v4
	ds_store_2addr_b32 v0, v1, v2 offset1:39
	ds_store_b32 v0, v3 offset:312
.LBB0_29:
	s_wait_alu 0xfffe
	s_or_b32 exec_lo, exec_lo, s0
	global_wb scope:SCOPE_SE
	s_wait_dscnt 0x0
	s_barrier_signal -1
	s_barrier_wait -1
	global_inv scope:SCOPE_SE
	v_add_nc_u32_e32 v0, 0x200, v45
	ds_load_2addr_b32 v[4:5], v45 offset1:117
	v_add_nc_u32_e32 v1, 0x600, v45
	v_add_nc_u32_e32 v2, 0xa00, v45
	;; [unrolled: 1-line block ×3, first 2 shown]
	ds_load_2addr_b32 v[6:7], v0 offset0:106 offset1:223
	ds_load_b32 v25, v45 offset:4680
	ds_load_2addr_b32 v[8:9], v1 offset0:84 offset1:201
	ds_load_2addr_b32 v[10:11], v2 offset0:62 offset1:179
	;; [unrolled: 1-line block ×3, first 2 shown]
	s_mov_b32 s10, 0x768d3a48
	s_mov_b32 s11, 0x3f4975f4
	s_wait_dscnt 0x5
	v_lshrrev_b32_e32 v27, 16, v5
	v_mul_f16_e32 v29, v98, v5
	v_lshrrev_b32_e32 v26, 16, v4
	s_wait_dscnt 0x4
	v_lshrrev_b32_e32 v30, 16, v6
	s_wait_dscnt 0x2
	v_lshrrev_b32_e32 v34, 16, v8
	v_mul_f16_e32 v40, v98, v27
	v_fma_f16 v27, v16, v27, -v29
	v_mul_f16_e32 v29, v97, v6
	v_lshrrev_b32_e32 v33, 16, v7
	v_lshrrev_b32_e32 v35, 16, v9
	v_mul_f16_e32 v42, v97, v30
	v_fmac_f16_e32 v40, v16, v5
	v_fma_f16 v16, v17, v30, -v29
	v_mul_f16_e32 v29, v95, v34
	s_wait_dscnt 0x1
	v_lshrrev_b32_e32 v36, 16, v10
	v_mul_f16_e32 v41, v96, v7
	v_mul_f16_e32 v5, v96, v33
	v_fmac_f16_e32 v42, v17, v6
	v_mul_f16_e32 v6, v95, v8
	v_fmac_f16_e32 v29, v19, v8
	v_mul_f16_e32 v8, v94, v35
	v_add_f16_e32 v17, v4, v40
	v_fmac_f16_e32 v5, v18, v7
	v_fma_f16 v7, v18, v33, -v41
	v_fma_f16 v6, v19, v34, -v6
	v_mul_f16_e32 v18, v94, v9
	v_mul_f16_e32 v19, v93, v36
	v_fmac_f16_e32 v8, v12, v9
	v_add_f16_e32 v9, v26, v27
	v_add_f16_e32 v17, v17, v42
	v_lshrrev_b32_e32 v37, 16, v11
	v_fmac_f16_e32 v19, v13, v10
	v_mul_f16_e32 v10, v93, v10
	v_add_f16_e32 v9, v9, v16
	v_add_f16_e32 v17, v17, v5
	s_wait_dscnt 0x0
	v_lshrrev_b32_e32 v38, 16, v23
	v_fma_f16 v12, v12, v35, -v18
	v_mul_f16_e32 v18, v92, v37
	v_mul_f16_e32 v30, v92, v11
	v_fma_f16 v10, v13, v36, -v10
	v_add_f16_e32 v9, v9, v7
	v_add_f16_e32 v13, v17, v29
	v_lshrrev_b32_e32 v39, 16, v24
	v_fmac_f16_e32 v18, v14, v11
	v_fma_f16 v11, v14, v37, -v30
	v_mul_f16_e32 v14, v91, v38
	v_add_f16_e32 v9, v9, v6
	v_add_f16_e32 v13, v13, v8
	v_mul_f16_e32 v17, v91, v23
	v_lshrrev_b32_e32 v28, 16, v25
	v_mul_f16_e32 v30, v89, v39
	v_fmac_f16_e32 v14, v15, v23
	v_add_f16_e32 v9, v9, v12
	v_add_f16_e32 v13, v13, v19
	v_fma_f16 v15, v15, v38, -v17
	v_mul_f16_e32 v17, v90, v25
	v_fmac_f16_e32 v30, v31, v24
	v_add_f16_e32 v9, v9, v10
	v_add_f16_e32 v13, v13, v18
	v_mul_f16_e32 v23, v89, v24
	v_mul_f16_e32 v24, v90, v28
	v_fma_f16 v17, v32, v28, -v17
	v_add_f16_e32 v9, v9, v11
	v_add_f16_e32 v13, v13, v14
	v_fma_f16 v23, v31, v39, -v23
	v_fmac_f16_e32 v24, v32, v25
	v_sub_f16_e32 v25, v27, v17
	v_add_f16_e32 v9, v9, v15
	v_add_f16_e32 v13, v13, v30
	;; [unrolled: 1-line block ×4, first 2 shown]
	v_mul_f16_e32 v31, 0xb853, v25
	v_sub_f16_e32 v68, v16, v23
	v_add_f16_e32 v9, v9, v23
	v_sub_f16_e32 v32, v40, v24
	v_mul_f16_e32 v33, 0x3abb, v27
	v_fmamk_f16 v34, v28, 0x3abb, v31
	v_add_f16_e32 v13, v13, v24
	v_mul_f16_e32 v24, 0xbb47, v25
	v_mul_f16_e32 v36, 0x36a6, v27
	;; [unrolled: 1-line block ×8, first 2 shown]
	v_add_f16_e32 v70, v42, v30
	v_mul_f16_e32 v71, 0xbb47, v68
	v_add_f16_e32 v16, v16, v23
	v_add_f16_e32 v9, v9, v17
	v_fmamk_f16 v17, v32, 0x3853, v33
	v_add_f16_e32 v34, v4, v34
	v_fma_f16 v31, v28, 0x3abb, -v31
	v_fmac_f16_e32 v33, 0xb853, v32
	v_fmamk_f16 v35, v28, 0x36a6, v24
	v_fmamk_f16 v38, v32, 0x3b47, v36
	v_fma_f16 v24, v28, 0x36a6, -v24
	v_fmac_f16_e32 v36, 0xbb47, v32
	v_fmamk_f16 v39, v28, 0xb08e, v37
	v_fmamk_f16 v41, v32, 0x3beb, v40
	;; [unrolled: 4-line block ×4, first 2 shown]
	v_fma_f16 v23, v28, 0xbbad, -v25
	v_fmac_f16_e32 v27, 0xb482, v32
	v_sub_f16_e32 v25, v42, v30
	v_fmamk_f16 v28, v70, 0x36a6, v71
	v_mul_f16_e32 v30, 0x36a6, v16
	v_add_f16_e32 v17, v26, v17
	v_add_f16_e32 v31, v4, v31
	;; [unrolled: 1-line block ×20, first 2 shown]
	v_fmamk_f16 v27, v25, 0x3b47, v30
	v_mul_f16_e32 v28, 0xba0c, v68
	v_fma_f16 v34, v70, 0x36a6, -v71
	v_fmac_f16_e32 v30, 0xbb47, v25
	v_mul_f16_e32 v42, 0xb93d, v16
	v_add_f16_e32 v17, v27, v17
	v_fmamk_f16 v27, v70, 0xb93d, v28
	v_add_f16_e32 v31, v34, v31
	v_add_f16_e32 v30, v30, v33
	v_fmamk_f16 v33, v25, 0x3a0c, v42
	v_mul_f16_e32 v34, 0x3482, v68
	v_add_f16_e32 v27, v27, v35
	v_fma_f16 v28, v70, 0xb93d, -v28
	v_fmac_f16_e32 v42, 0xba0c, v25
	v_add_f16_e32 v33, v33, v38
	v_fmamk_f16 v35, v70, 0xbbad, v34
	v_mul_f16_e32 v38, 0xbbad, v16
	v_add_f16_e32 v24, v28, v24
	v_add_f16_e32 v28, v42, v36
	v_mul_f16_e32 v36, 0x3beb, v68
	v_add_f16_e32 v35, v35, v39
	v_fmamk_f16 v39, v25, 0xb482, v38
	v_fma_f16 v34, v70, 0xbbad, -v34
	v_fmac_f16_e32 v38, 0x3482, v25
	v_mul_f16_e32 v69, 0xb08e, v16
	v_fmamk_f16 v42, v70, 0xb08e, v36
	v_mul_f16_e32 v16, 0x3abb, v16
	v_add_f16_e32 v34, v34, v37
	v_add_f16_e32 v37, v38, v40
	v_fmamk_f16 v40, v25, 0xbbeb, v69
	v_fma_f16 v36, v70, 0xb08e, -v36
	v_fmac_f16_e32 v69, 0x3beb, v25
	v_add_f16_e32 v39, v39, v41
	v_add_f16_e32 v38, v42, v65
	v_mul_f16_e32 v41, 0x3853, v68
	v_fmamk_f16 v65, v25, 0xb853, v16
	v_add_f16_e32 v36, v36, v43
	v_add_f16_e32 v43, v69, v44
	v_sub_f16_e32 v44, v7, v15
	v_add_f16_e32 v7, v7, v15
	v_fmamk_f16 v42, v70, 0x3abb, v41
	v_add_f16_e32 v32, v65, v32
	v_add_f16_e32 v65, v5, v14
	v_mul_f16_e32 v15, 0xbbeb, v44
	v_fma_f16 v41, v70, 0x3abb, -v41
	v_fmac_f16_e32 v16, 0x3853, v25
	v_sub_f16_e32 v5, v5, v14
	v_mul_f16_e32 v14, 0xb08e, v7
	v_fmamk_f16 v25, v65, 0xb08e, v15
	v_add_f16_e32 v4, v41, v4
	v_add_f16_e32 v16, v16, v23
	v_mul_f16_e32 v23, 0x3482, v44
	v_fmamk_f16 v41, v5, 0x3beb, v14
	v_add_f16_e32 v25, v25, v26
	v_fma_f16 v15, v65, 0xb08e, -v15
	v_fmac_f16_e32 v14, 0xbbeb, v5
	v_fmamk_f16 v26, v65, 0xbbad, v23
	v_add_f16_e32 v17, v41, v17
	v_mul_f16_e32 v41, 0xbbad, v7
	v_add_f16_e32 v15, v15, v31
	v_add_f16_e32 v14, v14, v30
	;; [unrolled: 1-line block ×3, first 2 shown]
	v_mul_f16_e32 v27, 0x3b47, v44
	v_fmamk_f16 v30, v5, 0xb482, v41
	v_fma_f16 v23, v65, 0xbbad, -v23
	v_fmac_f16_e32 v41, 0x3482, v5
	v_mul_f16_e32 v31, 0x36a6, v7
	v_add_f16_e32 v40, v40, v66
	v_fmamk_f16 v66, v65, 0x36a6, v27
	v_add_f16_e32 v23, v23, v24
	v_add_f16_e32 v24, v41, v28
	v_fmamk_f16 v28, v5, 0xbb47, v31
	v_add_f16_e32 v30, v30, v33
	v_add_f16_e32 v33, v66, v35
	v_mul_f16_e32 v35, 0xb853, v44
	v_fma_f16 v27, v65, 0x36a6, -v27
	v_fmac_f16_e32 v31, 0x3b47, v5
	v_add_f16_e32 v28, v28, v39
	v_mul_f16_e32 v39, 0x3abb, v7
	v_fmamk_f16 v41, v65, 0x3abb, v35
	v_add_f16_e32 v27, v27, v34
	v_add_f16_e32 v31, v31, v37
	v_mul_f16_e32 v34, 0xba0c, v44
	v_fmamk_f16 v37, v5, 0x3853, v39
	v_add_f16_e32 v42, v42, v67
	v_add_f16_e32 v38, v41, v38
	v_fma_f16 v35, v65, 0x3abb, -v35
	v_fmac_f16_e32 v39, 0xb853, v5
	v_fmamk_f16 v41, v65, 0xb93d, v34
	v_add_f16_e32 v37, v37, v40
	v_mul_f16_e32 v7, 0xb93d, v7
	v_sub_f16_e32 v40, v6, v11
	v_add_f16_e32 v6, v6, v11
	v_add_f16_e32 v35, v35, v36
	;; [unrolled: 1-line block ×4, first 2 shown]
	v_fmamk_f16 v41, v5, 0x3a0c, v7
	v_fma_f16 v34, v65, 0xb93d, -v34
	v_add_f16_e32 v11, v29, v18
	v_mul_f16_e32 v42, 0xba0c, v40
	v_fmac_f16_e32 v7, 0xba0c, v5
	v_sub_f16_e32 v5, v29, v18
	v_mul_f16_e32 v18, 0xb93d, v6
	v_add_f16_e32 v29, v41, v32
	v_fmamk_f16 v32, v11, 0xb93d, v42
	v_add_f16_e32 v4, v34, v4
	v_add_f16_e32 v7, v7, v16
	v_fmamk_f16 v16, v5, 0x3a0c, v18
	v_mul_f16_e32 v34, 0x3beb, v40
	v_fmac_f16_e32 v18, 0xba0c, v5
	v_add_f16_e32 v25, v32, v25
	v_fma_f16 v32, v11, 0xb93d, -v42
	v_add_f16_e32 v16, v16, v17
	v_fmamk_f16 v17, v11, 0xb08e, v34
	v_mul_f16_e32 v41, 0xb08e, v6
	v_add_f16_e32 v14, v18, v14
	v_mul_f16_e32 v18, 0xb853, v40
	v_add_f16_e32 v15, v32, v15
	v_add_f16_e32 v17, v17, v26
	v_fmamk_f16 v26, v5, 0xbbeb, v41
	v_fma_f16 v32, v11, 0xb08e, -v34
	v_fmamk_f16 v34, v11, 0x3abb, v18
	v_mul_f16_e32 v42, 0x3abb, v6
	v_fma_f16 v18, v11, 0x3abb, -v18
	v_add_f16_e32 v26, v26, v30
	v_add_f16_e32 v23, v32, v23
	;; [unrolled: 1-line block ×3, first 2 shown]
	v_fmamk_f16 v32, v5, 0x3853, v42
	v_mul_f16_e32 v33, 0xb482, v40
	v_mul_f16_e32 v34, 0xbbad, v6
	v_add_f16_e32 v18, v18, v27
	v_mul_f16_e32 v40, 0x3b47, v40
	v_add_f16_e32 v28, v32, v28
	v_fmamk_f16 v32, v11, 0xbbad, v33
	v_fmamk_f16 v27, v5, 0x3482, v34
	v_fma_f16 v33, v11, 0xbbad, -v33
	v_fmac_f16_e32 v34, 0xb482, v5
	v_mul_f16_e32 v6, 0x36a6, v6
	v_add_f16_e32 v32, v32, v38
	v_add_f16_e32 v27, v27, v37
	v_fmamk_f16 v37, v11, 0x36a6, v40
	v_add_f16_e32 v33, v33, v35
	v_sub_f16_e32 v35, v12, v10
	v_add_f16_e32 v34, v34, v36
	v_add_f16_e32 v38, v8, v19
	;; [unrolled: 1-line block ×4, first 2 shown]
	v_mul_f16_e32 v39, 0xb482, v35
	v_fmac_f16_e32 v41, 0x3beb, v5
	v_fmac_f16_e32 v42, 0xb853, v5
	v_fmamk_f16 v37, v5, 0xbb47, v6
	v_fma_f16 v11, v11, 0x36a6, -v40
	v_fmac_f16_e32 v6, 0x3b47, v5
	v_sub_f16_e32 v5, v8, v19
	v_fmamk_f16 v8, v38, 0xbbad, v39
	v_mul_f16_e32 v12, 0xbbad, v10
	v_add_f16_e32 v19, v37, v29
	v_add_f16_e32 v4, v11, v4
	;; [unrolled: 1-line block ×4, first 2 shown]
	v_fmamk_f16 v8, v5, 0x3482, v12
	v_mul_f16_e32 v11, 0x3853, v35
	v_fma_f16 v25, v38, 0xbbad, -v39
	v_fmac_f16_e32 v12, 0xb482, v5
	v_mul_f16_e32 v29, 0x3abb, v10
	v_add_f16_e32 v24, v41, v24
	v_add_f16_e32 v8, v8, v16
	v_fmamk_f16 v16, v38, 0x3abb, v11
	v_add_f16_e32 v15, v25, v15
	v_add_f16_e32 v12, v12, v14
	v_fmamk_f16 v14, v5, 0xb853, v29
	v_mul_f16_e32 v25, 0xba0c, v35
	v_fma_f16 v11, v38, 0x3abb, -v11
	v_fmac_f16_e32 v29, 0x3853, v5
	v_add_f16_e32 v16, v16, v17
	v_add_f16_e32 v14, v14, v26
	v_fmamk_f16 v17, v38, 0xb93d, v25
	v_mul_f16_e32 v26, 0xb93d, v10
	v_add_f16_e32 v11, v11, v23
	v_add_f16_e32 v23, v29, v24
	v_mul_f16_e32 v24, 0x3b47, v35
	v_add_f16_e32 v31, v42, v31
	v_add_f16_e32 v17, v17, v30
	v_fmamk_f16 v29, v5, 0x3a0c, v26
	v_fma_f16 v25, v38, 0xb93d, -v25
	v_fmac_f16_e32 v26, 0xba0c, v5
	v_fmamk_f16 v30, v38, 0x36a6, v24
	v_mul_f16_e32 v37, 0x36a6, v10
	v_mul_f16_e32 v10, 0xb08e, v10
	v_add_f16_e32 v18, v25, v18
	v_add_f16_e32 v25, v26, v31
	;; [unrolled: 1-line block ×3, first 2 shown]
	v_mul_f16_e32 v30, 0xbbeb, v35
	v_add_f16_e32 v28, v29, v28
	v_fmamk_f16 v29, v5, 0xbb47, v37
	v_fmamk_f16 v32, v5, 0x3beb, v10
	v_fma_f16 v24, v38, 0x36a6, -v24
	v_fmamk_f16 v31, v38, 0xb08e, v30
	v_fmac_f16_e32 v37, 0x3b47, v5
	v_fma_f16 v30, v38, 0xb08e, -v30
	v_fmac_f16_e32 v10, 0xbbeb, v5
	v_pack_b32_f16 v5, v13, v9
	v_pack_b32_f16 v7, v7, v8
	v_add_f16_e32 v27, v29, v27
	v_add_f16_e32 v8, v31, v36
	v_add_f16_e32 v9, v32, v19
	v_add_f16_e32 v24, v24, v33
	v_add_f16_e32 v29, v37, v34
	v_add_f16_e32 v4, v30, v4
	v_add_f16_e32 v6, v10, v6
	ds_store_2addr_b32 v45, v5, v7 offset1:117
	v_pack_b32_f16 v5, v16, v14
	v_pack_b32_f16 v7, v17, v28
	;; [unrolled: 1-line block ×9, first 2 shown]
	ds_store_2addr_b32 v0, v5, v7 offset0:106 offset1:223
	ds_store_2addr_b32 v1, v10, v8 offset0:84 offset1:201
	;; [unrolled: 1-line block ×4, first 2 shown]
	ds_store_b32 v45, v12 offset:4680
	global_wb scope:SCOPE_SE
	s_wait_dscnt 0x0
	s_barrier_signal -1
	s_barrier_wait -1
	global_inv scope:SCOPE_SE
	ds_load_2addr_b32 v[3:4], v45 offset1:117
	s_wait_dscnt 0x0
	v_lshrrev_b32_e32 v2, 16, v3
	s_delay_alu instid0(VALU_DEP_1) | instskip(NEXT) | instid1(VALU_DEP_1)
	v_mul_f16_e32 v0, v64, v2
	v_fmac_f16_e32 v0, v62, v3
	v_mul_f16_e32 v3, v64, v3
	s_delay_alu instid0(VALU_DEP_2) | instskip(NEXT) | instid1(VALU_DEP_2)
	v_cvt_f32_f16_e32 v0, v0
	v_fma_f16 v2, v62, v2, -v3
	s_delay_alu instid0(VALU_DEP_2) | instskip(NEXT) | instid1(VALU_DEP_2)
	v_cvt_f64_f32_e32 v[0:1], v0
	v_cvt_f32_f16_e32 v2, v2
	s_delay_alu instid0(VALU_DEP_1) | instskip(SKIP_1) | instid1(VALU_DEP_3)
	v_cvt_f64_f32_e32 v[2:3], v2
	s_wait_alu 0xfffe
	v_mul_f64_e32 v[5:6], s[10:11], v[0:1]
	v_add_nc_u32_e32 v0, 0x300, v45
	ds_load_2addr_b32 v[0:1], v0 offset0:42 offset1:237
	v_mul_f64_e32 v[7:8], s[10:11], v[2:3]
	s_wait_dscnt 0x0
	v_lshrrev_b32_e32 v9, 16, v1
	s_delay_alu instid0(VALU_DEP_1) | instskip(NEXT) | instid1(VALU_DEP_1)
	v_mul_f16_e32 v2, v63, v9
	v_fmac_f16_e32 v2, v61, v1
	v_mul_f16_e32 v1, v63, v1
	v_and_or_b32 v3, 0x1ff, v6, v5
	v_lshrrev_b32_e32 v10, 8, v6
	v_bfe_u32 v11, v6, 20, 11
	v_cvt_f32_f16_e32 v2, v2
	v_fma_f16 v1, v61, v9, -v1
	v_cmp_ne_u32_e64 s0, 0, v3
	v_and_or_b32 v7, 0x1ff, v8, v7
	s_delay_alu instid0(VALU_DEP_4)
	v_cvt_f64_f32_e32 v[2:3], v2
	v_lshrrev_b32_e32 v14, 8, v8
	s_wait_alu 0xf1ff
	v_cndmask_b32_e64 v5, 0, 1, s0
	v_add_nc_u32_e32 v17, 0xfffffc10, v11
	v_cmp_ne_u32_e64 s0, 0, v7
	v_bfe_u32 v15, v8, 20, 11
	v_cvt_f32_f16_e32 v1, v1
	v_and_or_b32 v5, 0xffe, v10, v5
	v_sub_nc_u32_e32 v10, 0x3f1, v11
	s_wait_alu 0xf1ff
	v_cndmask_b32_e64 v7, 0, 1, s0
	v_sub_nc_u32_e32 v11, 0x3f1, v15
	v_or_b32_e32 v12, 0x1000, v5
	v_med3_i32 v10, v10, 0, 13
	s_delay_alu instid0(VALU_DEP_4) | instskip(SKIP_1) | instid1(VALU_DEP_3)
	v_and_or_b32 v7, 0xffe, v14, v7
	v_lshl_or_b32 v14, v17, 12, v5
	v_lshrrev_b32_e32 v13, v10, v12
	s_delay_alu instid0(VALU_DEP_3) | instskip(NEXT) | instid1(VALU_DEP_2)
	v_or_b32_e32 v16, 0x1000, v7
	v_lshlrev_b32_e32 v10, v10, v13
	s_delay_alu instid0(VALU_DEP_1) | instskip(SKIP_1) | instid1(VALU_DEP_1)
	v_cmp_ne_u32_e64 s0, v10, v12
	s_wait_alu 0xf1ff
	v_cndmask_b32_e64 v9, 0, 1, s0
	v_cmp_gt_i32_e64 s0, 1, v17
	s_delay_alu instid0(VALU_DEP_2)
	v_or_b32_e32 v13, v13, v9
	v_cvt_f64_f32_e32 v[9:10], v1
	v_med3_i32 v1, v11, 0, 13
	v_mad_co_u64_u32 v[11:12], null, s6, v22, 0
	s_wait_alu 0xf1ff
	v_cndmask_b32_e64 v18, v14, v13, s0
	v_mul_f64_e32 v[13:14], s[10:11], v[2:3]
	v_add_nc_u32_e32 v2, 0xc00, v45
	v_lshrrev_b32_e32 v19, v1, v16
	s_delay_alu instid0(VALU_DEP_4)
	v_and_b32_e32 v23, 7, v18
	ds_load_2addr_b32 v[2:3], v2 offset0:90 offset1:207
	v_dual_mov_b32 v1, v12 :: v_dual_lshlrev_b32 v24, v1, v19
	v_cmp_lt_i32_e64 s0, 5, v23
	v_cmp_eq_u32_e64 s1, 3, v23
	v_add_nc_u32_e32 v23, 0xfffffc10, v15
	s_delay_alu instid0(VALU_DEP_4) | instskip(NEXT) | instid1(VALU_DEP_3)
	v_cmp_ne_u32_e64 s2, v24, v16
	s_or_b32 s0, s1, s0
	s_delay_alu instid0(VALU_DEP_1) | instskip(NEXT) | instid1(VALU_DEP_1)
	v_cndmask_b32_e64 v12, 0, 1, s2
	v_or_b32_e32 v12, v19, v12
	s_wait_dscnt 0x0
	v_mad_co_u64_u32 v[15:16], null, s7, v22, v[1:2]
	v_lshrrev_b32_e32 v1, 2, v18
	v_lshl_or_b32 v16, v23, 12, v7
	v_lshrrev_b32_e32 v18, 16, v2
	v_lshrrev_b32_e32 v22, 16, v6
	s_wait_alu 0xfffe
	v_add_co_ci_u32_e64 v1, s0, 0, v1, s0
	v_cmp_ne_u32_e64 s0, 0, v5
	v_mul_f64_e32 v[9:10], s[10:11], v[9:10]
	s_wait_alu 0xf1ff
	s_delay_alu instid0(VALU_DEP_2) | instskip(SKIP_1) | instid1(VALU_DEP_2)
	v_cndmask_b32_e64 v5, 0, 1, s0
	v_cmp_gt_i32_e64 s0, 1, v23
	v_lshl_or_b32 v5, v5, 9, 0x7c00
	s_wait_alu 0xf1ff
	s_delay_alu instid0(VALU_DEP_2) | instskip(SKIP_2) | instid1(VALU_DEP_3)
	v_cndmask_b32_e64 v12, v16, v12, s0
	v_cmp_gt_i32_e64 s0, 31, v17
	v_mul_f16_e32 v16, v60, v18
	v_and_b32_e32 v19, 7, v12
	s_wait_alu 0xf1ff
	s_delay_alu instid0(VALU_DEP_3)
	v_cndmask_b32_e64 v1, 0x7c00, v1, s0
	v_cmp_eq_u32_e64 s0, 0x40f, v17
	v_fmac_f16_e32 v16, v59, v2
	v_lshrrev_b32_e32 v12, 2, v12
	v_cmp_eq_u32_e64 s1, 3, v19
	s_wait_alu 0xf1ff
	v_cndmask_b32_e64 v1, v1, v5, s0
	v_and_or_b32 v5, 0x1ff, v14, v13
	v_cmp_lt_i32_e64 s0, 5, v19
	v_cvt_f32_f16_e32 v6, v16
	v_lshrrev_b32_e32 v16, 8, v14
	v_bfe_u32 v19, v14, 20, 11
	v_cmp_ne_u32_e64 s2, 0, v5
	s_or_b32 s0, s1, s0
	v_cvt_f64_f32_e32 v[5:6], v6
	s_wait_alu 0xfffe
	v_add_co_ci_u32_e64 v12, s0, 0, v12, s0
	v_cndmask_b32_e64 v13, 0, 1, s2
	v_sub_nc_u32_e32 v24, 0x3f1, v19
	v_cmp_ne_u32_e64 s0, 0, v7
	v_add_nc_u32_e32 v19, 0xfffffc10, v19
	v_lshrrev_b32_e32 v14, 16, v14
	v_and_or_b32 v13, 0xffe, v16, v13
	v_med3_i32 v24, v24, 0, 13
	s_wait_alu 0xf1ff
	v_cndmask_b32_e64 v7, 0, 1, s0
	v_cmp_gt_i32_e64 s0, 31, v23
	v_mad_co_u64_u32 v[16:17], null, s4, v57, 0
	v_or_b32_e32 v25, 0x1000, v13
	s_delay_alu instid0(VALU_DEP_4)
	v_lshl_or_b32 v7, v7, 9, 0x7c00
	s_wait_alu 0xf1ff
	v_cndmask_b32_e64 v26, 0x7c00, v12, s0
	v_mov_b32_e32 v12, v15
	v_and_or_b32 v15, 0x8000, v22, v1
	v_lshrrev_b32_e32 v22, v24, v25
	v_cmp_eq_u32_e64 s0, 0x40f, v23
	v_mov_b32_e32 v1, v17
	v_and_or_b32 v9, 0x1ff, v10, v9
	v_lshrrev_b32_e32 v17, 16, v8
	v_lshlrev_b32_e32 v24, v24, v22
	s_wait_alu 0xf1ff
	v_cndmask_b32_e64 v23, v26, v7, s0
	v_mad_co_u64_u32 v[7:8], null, s5, v57, v[1:2]
	v_mul_f16_e32 v1, v60, v2
	v_cmp_ne_u32_e64 s0, v24, v25
	s_delay_alu instid0(VALU_DEP_4) | instskip(SKIP_1) | instid1(VALU_DEP_4)
	v_and_or_b32 v23, 0x8000, v17, v23
	v_and_b32_e32 v15, 0xffff, v15
	v_fma_f16 v1, v59, v18, -v1
	v_mov_b32_e32 v17, v7
	s_wait_alu 0xf1ff
	v_cndmask_b32_e64 v2, 0, 1, s0
	v_cmp_ne_u32_e64 s0, 0, v9
	v_lshrrev_b32_e32 v9, 8, v10
	v_bfe_u32 v18, v10, 20, 11
	v_cvt_f32_f16_e32 v1, v1
	v_or_b32_e32 v22, v22, v2
	s_wait_alu 0xf1ff
	v_cndmask_b32_e64 v8, 0, 1, s0
	v_mul_f64_e32 v[5:6], s[10:11], v[5:6]
	v_cmp_gt_i32_e64 s0, 1, v19
	v_cvt_f64_f32_e32 v[1:2], v1
	v_lshl_or_b32 v23, v23, 16, v15
	v_and_or_b32 v24, 0xffe, v9, v8
	v_sub_nc_u32_e32 v8, 0x3f1, v18
	v_lshl_or_b32 v9, v19, 12, v13
	v_lshrrev_b32_e32 v10, 16, v10
	s_delay_alu instid0(VALU_DEP_4) | instskip(NEXT) | instid1(VALU_DEP_4)
	v_or_b32_e32 v25, 0x1000, v24
	v_med3_i32 v26, v8, 0, 13
	s_wait_alu 0xf1ff
	v_cndmask_b32_e64 v22, v9, v22, s0
	v_lshlrev_b64_e32 v[8:9], 2, v[11:12]
	s_delay_alu instid0(VALU_DEP_3) | instskip(NEXT) | instid1(VALU_DEP_3)
	v_lshrrev_b32_e32 v27, v26, v25
	v_and_b32_e32 v11, 7, v22
	s_delay_alu instid0(VALU_DEP_3) | instskip(NEXT) | instid1(VALU_DEP_3)
	v_add_co_u32 v15, s0, s8, v8
	v_lshlrev_b32_e32 v12, v26, v27
	v_lshlrev_b64_e32 v[7:8], 2, v[16:17]
	s_wait_alu 0xf1ff
	v_add_co_ci_u32_e64 v9, s0, s9, v9, s0
	v_cmp_lt_i32_e64 s0, 5, v11
	v_cmp_ne_u32_e64 s2, v12, v25
	v_cmp_eq_u32_e64 s1, 3, v11
	v_add_nc_u32_e32 v16, 0xfffffc10, v18
	v_lshrrev_b32_e32 v17, 16, v4
	s_wait_alu 0xf1ff
	v_cndmask_b32_e64 v11, 0, 1, s2
	v_add_co_u32 v7, s2, v15, v7
	s_wait_alu 0xf1ff
	v_add_co_ci_u32_e64 v8, s2, v9, v8, s2
	v_lshrrev_b32_e32 v9, 2, v22
	s_or_b32 s0, s1, s0
	v_or_b32_e32 v11, v27, v11
	v_lshl_or_b32 v12, v16, 12, v24
	v_and_or_b32 v5, 0x1ff, v6, v5
	s_wait_alu 0xfffe
	v_add_co_ci_u32_e64 v9, s0, 0, v9, s0
	v_cmp_ne_u32_e64 s0, 0, v13
	v_lshrrev_b32_e32 v18, 8, v6
	v_bfe_u32 v22, v6, 20, 11
	s_mul_u64 s[2:3], s[4:5], 0x1ad
	v_lshrrev_b32_e32 v6, 16, v6
	v_cndmask_b32_e64 v13, 0, 1, s0
	v_cmp_gt_i32_e64 s0, 1, v16
	s_wait_alu 0xfffe
	s_lshl_b64 s[12:13], s[2:3], 2
	s_delay_alu instid0(VALU_DEP_1)
	v_cndmask_b32_e64 v15, v12, v11, s0
	v_mul_f64_e32 v[11:12], s[10:11], v[1:2]
	v_cmp_gt_i32_e64 s0, 31, v19
	v_lshl_or_b32 v2, v13, 9, 0x7c00
	v_mul_f16_e32 v13, v58, v17
	s_wait_alu 0xf1ff
	s_delay_alu instid0(VALU_DEP_3)
	v_cndmask_b32_e64 v1, 0x7c00, v9, s0
	v_cmp_ne_u32_e64 s0, 0, v5
	v_and_b32_e32 v9, 7, v15
	v_fmac_f16_e32 v13, v56, v4
	v_mul_f16_e32 v4, v58, v4
	s_wait_alu 0xf1ff
	v_cndmask_b32_e64 v5, 0, 1, s0
	v_cmp_eq_u32_e64 s0, 0x40f, v19
	v_cmp_eq_u32_e64 s1, 3, v9
	v_fma_f16 v4, v56, v17, -v4
	s_delay_alu instid0(VALU_DEP_4)
	v_and_or_b32 v18, 0xffe, v18, v5
	s_wait_alu 0xf1ff
	v_cndmask_b32_e64 v19, v1, v2, s0
	v_cmp_lt_i32_e64 s0, 5, v9
	v_sub_nc_u32_e32 v1, 0x3f1, v22
	v_cvt_f32_f16_e32 v2, v13
	v_lshrrev_b32_e32 v5, 2, v15
	v_or_b32_e32 v9, 0x1000, v18
	s_or_b32 s0, s1, s0
	v_med3_i32 v13, v1, 0, 13
	v_cvt_f64_f32_e32 v[1:2], v2
	s_wait_alu 0xfffe
	v_add_co_ci_u32_e64 v5, s0, 0, v5, s0
	v_cmp_ne_u32_e64 s0, 0, v24
	v_lshrrev_b32_e32 v24, v13, v9
	v_cvt_f32_f16_e32 v4, v4
	v_and_or_b32 v14, 0x8000, v14, v19
	s_wait_alu 0xf1ff
	v_cndmask_b32_e64 v15, 0, 1, s0
	v_cmp_gt_i32_e64 s0, 31, v16
	v_lshlrev_b32_e32 v13, v13, v24
	v_and_b32_e32 v14, 0xffff, v14
	v_bfe_u32 v17, v12, 20, 11
	v_lshl_or_b32 v15, v15, 9, 0x7c00
	s_wait_alu 0xf1ff
	v_cndmask_b32_e64 v5, 0x7c00, v5, s0
	v_cmp_eq_u32_e64 s0, 0x40f, v16
	v_lshrrev_b32_e32 v16, 8, v12
	s_wait_alu 0xf1ff
	s_delay_alu instid0(VALU_DEP_2) | instskip(SKIP_3) | instid1(VALU_DEP_4)
	v_cndmask_b32_e64 v15, v5, v15, s0
	v_and_or_b32 v5, 0x1ff, v12, v11
	v_cmp_ne_u32_e64 s0, v13, v9
	v_add_nc_u32_e32 v11, 0xfffffc10, v22
	v_and_or_b32 v15, 0x8000, v10, v15
	s_wait_alu 0xf1ff
	s_delay_alu instid0(VALU_DEP_3) | instskip(SKIP_3) | instid1(VALU_DEP_4)
	v_cndmask_b32_e64 v9, 0, 1, s0
	v_cmp_ne_u32_e64 s0, 0, v5
	v_cvt_f64_f32_e32 v[4:5], v4
	v_lshl_or_b32 v19, v11, 12, v18
	v_or_b32_e32 v9, v24, v9
	s_wait_alu 0xf1ff
	v_cndmask_b32_e64 v13, 0, 1, s0
	v_cmp_gt_i32_e64 s0, 1, v11
	v_add_nc_u32_e32 v24, 0x800, v45
	s_delay_alu instid0(VALU_DEP_3)
	v_and_or_b32 v22, 0xffe, v16, v13
	v_sub_nc_u32_e32 v13, 0x3f1, v17
	s_wait_alu 0xf1ff
	v_cndmask_b32_e64 v16, v19, v9, s0
	v_mul_f64_e32 v[9:10], s[10:11], v[1:2]
	ds_load_2addr_b32 v[1:2], v24 offset0:34 offset1:151
	v_or_b32_e32 v19, 0x1000, v22
	v_med3_i32 v13, v13, 0, 13
	v_and_b32_e32 v25, 7, v16
	v_add_nc_u32_e32 v17, 0xfffffc10, v17
	s_delay_alu instid0(VALU_DEP_3) | instskip(NEXT) | instid1(VALU_DEP_3)
	v_lshrrev_b32_e32 v24, v13, v19
	v_cmp_lt_i32_e64 s0, 5, v25
	v_cmp_eq_u32_e64 s1, 3, v25
	v_lshl_or_b32 v25, v15, 16, v14
	v_lshrrev_b32_e32 v14, 2, v16
	v_lshlrev_b32_e32 v13, v13, v24
	s_delay_alu instid0(VALU_DEP_4) | instskip(SKIP_1) | instid1(VALU_DEP_2)
	s_or_b32 s0, s1, s0
	s_wait_alu 0xfffe
	v_add_co_ci_u32_e64 v14, s0, 0, v14, s0
	s_delay_alu instid0(VALU_DEP_2) | instskip(SKIP_1) | instid1(VALU_DEP_1)
	v_cmp_ne_u32_e64 s0, v13, v19
	s_wait_alu 0xf1ff
	v_cndmask_b32_e64 v13, 0, 1, s0
	v_cmp_ne_u32_e64 s0, 0, v18
	s_wait_dscnt 0x0
	v_lshrrev_b32_e32 v18, 16, v1
	v_mul_f64_e32 v[4:5], s[10:11], v[4:5]
	v_or_b32_e32 v13, v24, v13
	s_wait_alu 0xf1ff
	v_cndmask_b32_e64 v15, 0, 1, s0
	v_cmp_gt_i32_e64 s0, 31, v11
	v_mul_f16_e32 v24, v55, v18
	s_delay_alu instid0(VALU_DEP_3) | instskip(SKIP_1) | instid1(VALU_DEP_3)
	v_lshl_or_b32 v15, v15, 9, 0x7c00
	s_wait_alu 0xf1ff
	v_cndmask_b32_e64 v16, 0x7c00, v14, s0
	v_lshl_or_b32 v14, v17, 12, v22
	v_cmp_gt_i32_e64 s0, 1, v17
	v_fmac_f16_e32 v24, v54, v1
	v_and_or_b32 v9, 0x1ff, v10, v9
	v_mul_f16_e32 v1, v55, v1
	s_wait_alu 0xf1ff
	v_cndmask_b32_e64 v19, v14, v13, s0
	v_add_co_u32 v13, s0, v7, s12
	s_wait_alu 0xf1ff
	v_add_co_ci_u32_e64 v14, s0, s13, v8, s0
	v_cmp_eq_u32_e64 s0, 0x40f, v11
	v_and_b32_e32 v26, 7, v19
	v_cmp_ne_u32_e64 s2, 0, v9
	v_fma_f16 v1, v54, v18, -v1
	s_clause 0x1
	global_store_b32 v[7:8], v23, off
	global_store_b32 v[13:14], v25, off
	s_wait_alu 0xf1ff
	v_cndmask_b32_e64 v11, v16, v15, s0
	v_cvt_f32_f16_e32 v15, v24
	v_cmp_lt_i32_e64 s0, 5, v26
	v_cmp_eq_u32_e64 s1, 3, v26
	v_cndmask_b32_e64 v9, 0, 1, s2
	v_lshrrev_b32_e32 v24, 8, v10
	v_cvt_f64_f32_e32 v[15:16], v15
	v_and_or_b32 v6, 0x8000, v6, v11
	v_lshrrev_b32_e32 v11, 2, v19
	v_bfe_u32 v19, v10, 20, 11
	s_or_b32 s0, s1, s0
	v_and_or_b32 v24, 0xffe, v24, v9
	v_and_or_b32 v4, 0x1ff, v5, v4
	s_wait_alu 0xfffe
	v_add_co_ci_u32_e64 v9, s0, 0, v11, s0
	v_sub_nc_u32_e32 v11, 0x3f1, v19
	v_cmp_ne_u32_e64 s0, 0, v22
	v_or_b32_e32 v26, 0x1000, v24
	v_cvt_f32_f16_e32 v1, v1
	v_add_nc_u32_e32 v19, 0xfffffc10, v19
	v_med3_i32 v11, v11, 0, 13
	s_wait_alu 0xf1ff
	v_cndmask_b32_e64 v22, 0, 1, s0
	v_cmp_gt_i32_e64 s0, 31, v17
	v_and_b32_e32 v6, 0xffff, v6
	v_lshl_or_b32 v28, v19, 12, v24
	v_lshrrev_b32_e32 v27, v11, v26
	v_lshl_or_b32 v22, v22, 9, 0x7c00
	s_wait_alu 0xf1ff
	v_cndmask_b32_e64 v9, 0x7c00, v9, s0
	v_cmp_eq_u32_e64 s0, 0x40f, v17
	v_cvt_f64_f32_e32 v[17:18], v1
	v_lshlrev_b32_e32 v11, v11, v27
	v_bfe_u32 v1, v5, 20, 11
	s_wait_alu 0xf1ff
	v_cndmask_b32_e64 v9, v9, v22, s0
	v_cmp_ne_u32_e64 s0, 0, v4
	v_lshrrev_b32_e32 v22, 8, v5
	v_lshrrev_b32_e32 v5, 16, v5
	s_wait_alu 0xf1ff
	s_delay_alu instid0(VALU_DEP_3) | instskip(SKIP_3) | instid1(VALU_DEP_4)
	v_cndmask_b32_e64 v4, 0, 1, s0
	v_cmp_ne_u32_e64 s0, v11, v26
	v_sub_nc_u32_e32 v26, 0x3f1, v1
	v_add_nc_u32_e32 v1, 0xfffffc10, v1
	v_and_or_b32 v4, 0xffe, v22, v4
	s_wait_alu 0xf1ff
	v_cndmask_b32_e64 v11, 0, 1, s0
	v_lshrrev_b32_e32 v22, 16, v12
	v_cmp_gt_i32_e64 s0, 1, v19
	v_or_b32_e32 v29, 0x1000, v4
	s_delay_alu instid0(VALU_DEP_4)
	v_or_b32_e32 v27, v27, v11
	v_mul_f64_e32 v[11:12], s[10:11], v[15:16]
	v_med3_i32 v15, v26, 0, 13
	v_and_or_b32 v9, 0x8000, v22, v9
	s_wait_alu 0xf1ff
	v_cndmask_b32_e64 v16, v28, v27, s0
	s_delay_alu instid0(VALU_DEP_3) | instskip(NEXT) | instid1(VALU_DEP_3)
	v_lshrrev_b32_e32 v22, v15, v29
	v_lshl_or_b32 v23, v9, 16, v6
	v_add_co_u32 v6, s0, v13, s12
	s_delay_alu instid0(VALU_DEP_4) | instskip(NEXT) | instid1(VALU_DEP_4)
	v_and_b32_e32 v8, 7, v16
	v_lshlrev_b32_e32 v9, v15, v22
	s_wait_alu 0xf1ff
	v_add_co_ci_u32_e64 v7, s0, s13, v14, s0
	v_lshl_or_b32 v15, v1, 12, v4
	v_cmp_lt_i32_e64 s0, 5, v8
	v_cmp_eq_u32_e64 s1, 3, v8
	v_lshrrev_b32_e32 v8, 2, v16
	v_cmp_ne_u32_e64 s2, v9, v29
	v_lshrrev_b32_e32 v16, 16, v3
	s_delay_alu instid0(VALU_DEP_4) | instskip(SKIP_4) | instid1(VALU_DEP_2)
	s_or_b32 s0, s1, s0
	s_wait_alu 0xfffe
	v_add_co_ci_u32_e64 v13, s0, 0, v8, s0
	v_cndmask_b32_e64 v9, 0, 1, s2
	v_cmp_ne_u32_e64 s0, 0, v24
	v_or_b32_e32 v14, v22, v9
	v_mul_f64_e32 v[8:9], s[10:11], v[17:18]
	s_wait_alu 0xf1ff
	s_delay_alu instid0(VALU_DEP_3) | instskip(SKIP_1) | instid1(VALU_DEP_2)
	v_cndmask_b32_e64 v17, 0, 1, s0
	v_cmp_gt_i32_e64 s0, 1, v1
	v_lshl_or_b32 v17, v17, 9, 0x7c00
	s_wait_alu 0xf1ff
	s_delay_alu instid0(VALU_DEP_2)
	v_cndmask_b32_e64 v14, v15, v14, s0
	v_mul_f16_e32 v15, v53, v16
	v_cmp_gt_i32_e64 s0, 31, v19
	v_and_or_b32 v11, 0x1ff, v12, v11
	v_bfe_u32 v22, v12, 20, 11
	v_and_b32_e32 v18, 7, v14
	v_fmac_f16_e32 v15, v52, v3
	s_wait_alu 0xf1ff
	v_cndmask_b32_e64 v13, 0x7c00, v13, s0
	v_cmp_eq_u32_e64 s0, 0x40f, v19
	v_cmp_ne_u32_e64 s1, 0, v11
	v_lshrrev_b32_e32 v14, 2, v14
	v_lshrrev_b32_e32 v19, 8, v12
	v_mul_f16_e32 v3, v53, v3
	s_wait_alu 0xf1ff
	v_cndmask_b32_e64 v13, v13, v17, s0
	v_lshrrev_b32_e32 v17, 16, v10
	v_cvt_f32_f16_e32 v10, v15
	v_cmp_lt_i32_e64 s0, 5, v18
	v_cndmask_b32_e64 v15, 0, 1, s1
	v_cmp_eq_u32_e64 s1, 3, v18
	v_and_or_b32 v13, 0x8000, v17, v13
	v_cvt_f64_f32_e32 v[10:11], v10
	v_sub_nc_u32_e32 v17, 0x3f1, v22
	v_and_or_b32 v15, 0xffe, v19, v15
	s_or_b32 s0, s1, s0
	v_fma_f16 v3, v52, v16, -v3
	s_wait_alu 0xfffe
	v_add_co_ci_u32_e64 v14, s0, 0, v14, s0
	v_cmp_ne_u32_e64 s0, 0, v4
	v_or_b32_e32 v18, 0x1000, v15
	v_med3_i32 v17, v17, 0, 13
	v_cvt_f32_f16_e32 v3, v3
	v_and_or_b32 v8, 0x1ff, v9, v8
	s_wait_alu 0xf1ff
	v_cndmask_b32_e64 v4, 0, 1, s0
	v_cmp_gt_i32_e64 s0, 31, v1
	v_lshrrev_b32_e32 v19, v17, v18
	v_lshrrev_b32_e32 v16, 8, v9
	v_and_b32_e32 v13, 0xffff, v13
	v_lshl_or_b32 v4, v4, 9, 0x7c00
	s_wait_alu 0xf1ff
	v_cndmask_b32_e64 v14, 0x7c00, v14, s0
	v_cmp_eq_u32_e64 s0, 0x40f, v1
	v_lshrrev_b32_e32 v12, 16, v12
	s_wait_alu 0xf1ff
	s_delay_alu instid0(VALU_DEP_2)
	v_cndmask_b32_e64 v1, v14, v4, s0
	v_lshlrev_b32_e32 v14, v17, v19
	v_cmp_ne_u32_e64 s0, 0, v8
	v_cvt_f64_f32_e32 v[3:4], v3
	v_bfe_u32 v17, v9, 20, 11
	v_and_or_b32 v1, 0x8000, v5, v1
	s_wait_alu 0xf1ff
	v_cndmask_b32_e64 v8, 0, 1, s0
	v_cmp_ne_u32_e64 s0, v14, v18
	v_add_nc_u32_e32 v18, 0xfffffc10, v22
	v_lshl_or_b32 v24, v1, 16, v13
	s_delay_alu instid0(VALU_DEP_4)
	v_and_or_b32 v5, 0xffe, v16, v8
	s_wait_alu 0xf1ff
	v_cndmask_b32_e64 v14, 0, 1, s0
	v_sub_nc_u32_e32 v8, 0x3f1, v17
	v_lshl_or_b32 v16, v18, 12, v15
	v_mul_f64_e32 v[10:11], s[10:11], v[10:11]
	v_cmp_gt_i32_e64 s0, 1, v18
	v_or_b32_e32 v14, v19, v14
	v_or_b32_e32 v19, 0x1000, v5
	v_med3_i32 v8, v8, 0, 13
	v_add_nc_u32_e32 v17, 0xfffffc10, v17
	s_wait_alu 0xf1ff
	v_cndmask_b32_e64 v14, v16, v14, s0
	s_movk_i32 s0, 0xfd1b
	v_lshrrev_b32_e32 v16, v8, v19
	s_mov_b32 s1, -1
	s_delay_alu instid0(VALU_DEP_2)
	v_and_b32_e32 v22, 7, v14
	s_wait_alu 0xfffe
	s_mul_u64 s[0:1], s[4:5], s[0:1]
	v_lshlrev_b32_e32 v1, v8, v16
	s_wait_alu 0xfffe
	s_lshl_b64 s[4:5], s[0:1], 2
	v_lshrrev_b32_e32 v13, 2, v14
	v_cmp_lt_i32_e64 s0, 5, v22
	v_cmp_eq_u32_e64 s1, 3, v22
	v_lshrrev_b32_e32 v8, 16, v0
	v_cmp_ne_u32_e64 s2, v1, v19
	s_delay_alu instid0(VALU_DEP_3) | instskip(NEXT) | instid1(VALU_DEP_2)
	s_or_b32 s0, s1, s0
	v_mul_f16_e32 v14, v51, v8
	s_wait_alu 0xfffe
	v_add_co_ci_u32_e64 v13, s0, 0, v13, s0
	v_cndmask_b32_e64 v1, 0, 1, s2
	v_cmp_ne_u32_e64 s0, 0, v15
	v_fmac_f16_e32 v14, v50, v0
	v_mul_f64_e32 v[3:4], s[10:11], v[3:4]
	s_delay_alu instid0(VALU_DEP_4)
	v_or_b32_e32 v1, v16, v1
	v_lshl_or_b32 v16, v17, 12, v5
	s_wait_alu 0xf1ff
	v_cndmask_b32_e64 v15, 0, 1, s0
	v_cmp_gt_i32_e64 s0, 1, v17
	v_cvt_f32_f16_e32 v14, v14
	v_and_or_b32 v10, 0x1ff, v11, v10
	s_delay_alu instid0(VALU_DEP_4) | instskip(SKIP_4) | instid1(VALU_DEP_3)
	v_lshl_or_b32 v22, v15, 9, 0x7c00
	s_wait_alu 0xf1ff
	v_cndmask_b32_e64 v1, v16, v1, s0
	v_cmp_gt_i32_e64 s0, 31, v18
	v_cmp_ne_u32_e64 s1, 0, v10
	v_and_b32_e32 v25, 7, v1
	s_wait_alu 0xf1ff
	s_delay_alu instid0(VALU_DEP_3)
	v_cndmask_b32_e64 v19, 0x7c00, v13, s0
	v_cvt_f64_f32_e32 v[13:14], v14
	v_add_co_u32 v15, s0, v6, s4
	s_wait_alu 0xf1ff
	v_add_co_ci_u32_e64 v16, s0, s5, v7, s0
	v_cmp_eq_u32_e64 s0, 0x40f, v18
	v_cndmask_b32_e64 v10, 0, 1, s1
	v_cmp_eq_u32_e64 s1, 3, v25
	v_lshrrev_b32_e32 v1, 2, v1
	s_clause 0x1
	global_store_b32 v[6:7], v23, off
	global_store_b32 v[15:16], v24, off
	s_wait_alu 0xf1ff
	v_cndmask_b32_e64 v18, v19, v22, s0
	v_cmp_lt_i32_e64 s0, 5, v25
	v_lshrrev_b32_e32 v19, 8, v11
	v_bfe_u32 v22, v11, 20, 11
	v_lshrrev_b32_e32 v11, 16, v11
	v_and_or_b32 v12, 0x8000, v12, v18
	s_or_b32 s0, s1, s0
	v_and_or_b32 v10, 0xffe, v19, v10
	s_wait_alu 0xfffe
	v_add_co_ci_u32_e64 v1, s0, 0, v1, s0
	v_sub_nc_u32_e32 v19, 0x3f1, v22
	v_cmp_ne_u32_e64 s0, 0, v5
	v_or_b32_e32 v25, 0x1000, v10
	v_and_or_b32 v3, 0x1ff, v4, v3
	v_lshrrev_b32_e32 v26, 8, v4
	v_med3_i32 v19, v19, 0, 13
	s_wait_alu 0xf1ff
	v_cndmask_b32_e64 v5, 0, 1, s0
	v_cmp_gt_i32_e64 s0, 31, v17
	v_bfe_u32 v27, v4, 20, 11
	v_and_b32_e32 v12, 0xffff, v12
	v_lshrrev_b32_e32 v18, v19, v25
	v_lshl_or_b32 v5, v5, 9, 0x7c00
	s_wait_alu 0xf1ff
	v_cndmask_b32_e64 v1, 0x7c00, v1, s0
	v_cmp_eq_u32_e64 s0, 0x40f, v17
	v_lshrrev_b32_e32 v17, 16, v9
	v_lshlrev_b32_e32 v9, v19, v18
	v_mul_f16_e32 v19, v51, v0
	v_lshrrev_b32_e32 v4, 16, v4
	s_wait_alu 0xf1ff
	v_cndmask_b32_e64 v5, v1, v5, s0
	v_cmp_ne_u32_e64 s0, 0, v3
	v_mul_f64_e32 v[0:1], s[10:11], v[13:14]
	v_fma_f16 v8, v50, v8, -v19
	v_add_nc_u32_e32 v14, 0xfffffc10, v22
	v_sub_nc_u32_e32 v13, 0x3f1, v27
	s_wait_alu 0xf1ff
	v_cndmask_b32_e64 v3, 0, 1, s0
	v_cmp_ne_u32_e64 s0, v9, v25
	v_cvt_f32_f16_e32 v8, v8
	v_lshl_or_b32 v19, v14, 12, v10
	v_med3_i32 v13, v13, 0, 13
	v_and_or_b32 v3, 0xffe, v26, v3
	s_wait_alu 0xf1ff
	v_cndmask_b32_e64 v9, 0, 1, s0
	v_cmp_gt_i32_e64 s0, 1, v14
	v_and_or_b32 v5, 0x8000, v17, v5
	v_cmp_eq_u32_e64 s2, 0x40f, v14
	v_or_b32_e32 v22, 0x1000, v3
	v_or_b32_e32 v18, v18, v9
	v_cvt_f64_f32_e32 v[8:9], v8
	s_wait_alu 0xf1ff
	s_delay_alu instid0(VALU_DEP_2) | instskip(SKIP_3) | instid1(VALU_DEP_4)
	v_cndmask_b32_e64 v17, v19, v18, s0
	v_lshrrev_b32_e32 v18, v13, v22
	v_lshl_or_b32 v19, v5, 16, v12
	v_add_co_u32 v5, s0, v15, s12
	v_and_b32_e32 v7, 7, v17
	s_delay_alu instid0(VALU_DEP_4)
	v_lshlrev_b32_e32 v12, v13, v18
	s_wait_alu 0xf1ff
	v_add_co_ci_u32_e64 v6, s0, s13, v16, s0
	v_lshrrev_b32_e32 v15, 16, v2
	v_cmp_lt_i32_e64 s0, 5, v7
	v_cmp_ne_u32_e64 s1, v12, v22
	v_add_nc_u32_e32 v16, 0xfffffc10, v27
	s_delay_alu instid0(VALU_DEP_4) | instskip(SKIP_1) | instid1(VALU_DEP_3)
	v_mul_f16_e32 v13, v49, v15
	s_wait_alu 0xf1ff
	v_cndmask_b32_e64 v12, 0, 1, s1
	v_cmp_eq_u32_e64 s1, 3, v7
	v_lshrrev_b32_e32 v7, 2, v17
	v_lshl_or_b32 v17, v16, 12, v3
	v_and_or_b32 v0, 0x1ff, v1, v0
	v_or_b32_e32 v12, v18, v12
	s_or_b32 s0, s1, s0
	v_fmac_f16_e32 v13, v48, v2
	s_wait_alu 0xfffe
	v_add_co_ci_u32_e64 v18, s0, 0, v7, s0
	v_cmp_gt_i32_e64 s0, 1, v16
	v_lshrrev_b32_e32 v22, 8, v1
	v_cvt_f32_f16_e32 v7, v13
	v_bfe_u32 v23, v1, 20, 11
	v_lshrrev_b32_e32 v1, 16, v1
	s_wait_alu 0xf1ff
	v_cndmask_b32_e64 v17, v17, v12, s0
	v_cmp_ne_u32_e64 s0, 0, v0
	v_cvt_f64_f32_e32 v[12:13], v7
	v_mul_f64_e32 v[7:8], s[10:11], v[8:9]
	s_wait_alu 0xf1ff
	s_delay_alu instid0(VALU_DEP_3) | instskip(SKIP_2) | instid1(VALU_DEP_3)
	v_cndmask_b32_e64 v0, 0, 1, s0
	v_cmp_ne_u32_e64 s0, 0, v10
	v_and_b32_e32 v10, 7, v17
	v_and_or_b32 v0, 0xffe, v22, v0
	s_wait_alu 0xf1ff
	s_delay_alu instid0(VALU_DEP_3)
	v_cndmask_b32_e64 v9, 0, 1, s0
	v_cmp_gt_i32_e64 s0, 31, v14
	v_sub_nc_u32_e32 v22, 0x3f1, v23
	v_cmp_eq_u32_e64 s1, 3, v10
	v_or_b32_e32 v24, 0x1000, v0
	v_lshl_or_b32 v9, v9, 9, 0x7c00
	s_wait_alu 0xf1ff
	v_cndmask_b32_e64 v18, 0x7c00, v18, s0
	v_cmp_lt_i32_e64 s0, 5, v10
	v_lshrrev_b32_e32 v10, 2, v17
	v_med3_i32 v22, v22, 0, 13
	s_delay_alu instid0(VALU_DEP_4) | instskip(NEXT) | instid1(VALU_DEP_4)
	v_cndmask_b32_e64 v9, v18, v9, s2
	s_or_b32 s0, s1, s0
	s_wait_alu 0xfffe
	v_add_co_ci_u32_e64 v10, s0, 0, v10, s0
	v_lshrrev_b32_e32 v14, v22, v24
	v_cmp_ne_u32_e64 s0, 0, v3
	v_and_or_b32 v11, 0x8000, v11, v9
	s_delay_alu instid0(VALU_DEP_3) | instskip(SKIP_1) | instid1(VALU_DEP_3)
	v_lshlrev_b32_e32 v17, v22, v14
	s_wait_alu 0xf1ff
	v_cndmask_b32_e64 v3, 0, 1, s0
	v_cmp_gt_i32_e64 s0, 31, v16
	v_and_b32_e32 v11, 0xffff, v11
	s_delay_alu instid0(VALU_DEP_3) | instskip(SKIP_1) | instid1(VALU_DEP_3)
	v_lshl_or_b32 v3, v3, 9, 0x7c00
	s_wait_alu 0xf1ff
	v_cndmask_b32_e64 v10, 0x7c00, v10, s0
	v_cmp_ne_u32_e64 s0, v17, v24
	ds_load_b32 v17, v45 offset:4368
	v_and_or_b32 v7, 0x1ff, v8, v7
	s_wait_alu 0xf1ff
	v_cndmask_b32_e64 v9, 0, 1, s0
	v_cmp_eq_u32_e64 s0, 0x40f, v16
	v_add_nc_u32_e32 v16, 0xfffffc10, v23
	s_delay_alu instid0(VALU_DEP_3)
	v_or_b32_e32 v9, v14, v9
	v_mul_f16_e32 v14, v49, v2
	s_wait_alu 0xf1ff
	v_cndmask_b32_e64 v10, v10, v3, s0
	v_mul_f64_e32 v[2:3], s[10:11], v[12:13]
	v_lshl_or_b32 v12, v16, 12, v0
	v_cmp_gt_i32_e64 s0, 1, v16
	v_fma_f16 v13, v48, v15, -v14
	v_and_or_b32 v4, 0x8000, v4, v10
	v_bfe_u32 v14, v8, 20, 11
	s_wait_alu 0xf1ff
	v_cndmask_b32_e64 v12, v12, v9, s0
	v_cvt_f32_f16_e32 v9, v13
	v_cmp_ne_u32_e64 s0, 0, v7
	v_lshrrev_b32_e32 v13, 8, v8
	s_wait_dscnt 0x0
	v_lshrrev_b32_e32 v18, 16, v17
	v_and_b32_e32 v15, 7, v12
	v_cvt_f64_f32_e32 v[9:10], v9
	s_wait_alu 0xf1ff
	v_cndmask_b32_e64 v7, 0, 1, s0
	v_lshl_or_b32 v4, v4, 16, v11
	v_lshrrev_b32_e32 v11, 2, v12
	v_cmp_lt_i32_e64 s0, 5, v15
	v_cmp_eq_u32_e64 s1, 3, v15
	v_and_or_b32 v7, 0xffe, v13, v7
	v_sub_nc_u32_e32 v13, 0x3f1, v14
	v_mul_f16_e32 v23, v47, v18
	s_delay_alu instid0(VALU_DEP_4) | instskip(NEXT) | instid1(VALU_DEP_3)
	s_or_b32 s0, s1, s0
	v_or_b32_e32 v22, 0x1000, v7
	s_delay_alu instid0(VALU_DEP_3)
	v_med3_i32 v13, v13, 0, 13
	s_wait_alu 0xfffe
	v_add_co_ci_u32_e64 v11, s0, 0, v11, s0
	v_fmac_f16_e32 v23, v46, v17
	v_cmp_ne_u32_e64 s0, 0, v0
	v_lshrrev_b32_e32 v15, v13, v22
	s_delay_alu instid0(VALU_DEP_3) | instskip(SKIP_1) | instid1(VALU_DEP_3)
	v_cvt_f32_f16_e32 v12, v23
	s_wait_alu 0xf1ff
	v_cndmask_b32_e64 v0, 0, 1, s0
	v_cmp_gt_i32_e64 s0, 31, v16
	v_lshlrev_b32_e32 v13, v13, v15
	v_and_or_b32 v2, 0x1ff, v3, v2
	v_bfe_u32 v24, v3, 20, 11
	s_wait_alu 0xf1ff
	v_cndmask_b32_e64 v23, 0x7c00, v11, s0
	v_cvt_f64_f32_e32 v[11:12], v12
	v_cmp_ne_u32_e64 s0, v13, v22
	v_add_nc_u32_e32 v22, 0xfffffc10, v14
	v_mul_f16_e32 v14, v47, v17
	v_lshrrev_b32_e32 v17, 8, v3
	v_lshl_or_b32 v0, v0, 9, 0x7c00
	s_wait_alu 0xf1ff
	v_cndmask_b32_e64 v13, 0, 1, s0
	v_cmp_ne_u32_e64 s0, 0, v2
	v_fma_f16 v14, v46, v18, -v14
	v_lshrrev_b32_e32 v3, 16, v3
	v_mul_f64_e32 v[9:10], s[10:11], v[9:10]
	v_or_b32_e32 v13, v15, v13
	s_wait_alu 0xf1ff
	v_cndmask_b32_e64 v2, 0, 1, s0
	v_lshl_or_b32 v15, v22, 12, v7
	v_cmp_gt_i32_e64 s0, 1, v22
	v_cvt_f32_f16_e32 v14, v14
	s_delay_alu instid0(VALU_DEP_4)
	v_and_or_b32 v2, 0xffe, v17, v2
	v_sub_nc_u32_e32 v17, 0x3f1, v24
	s_wait_alu 0xf1ff
	v_cndmask_b32_e64 v18, v15, v13, s0
	v_cmp_eq_u32_e64 s0, 0x40f, v16
	v_cvt_f64_f32_e32 v[13:14], v14
	v_or_b32_e32 v25, 0x1000, v2
	v_med3_i32 v17, v17, 0, 13
	s_wait_alu 0xf1ff
	v_cndmask_b32_e64 v0, v23, v0, s0
	v_and_b32_e32 v23, 7, v18
	v_add_co_u32 v15, s0, v5, s12
	v_lshrrev_b32_e32 v26, v17, v25
	s_wait_alu 0xf1ff
	v_add_co_ci_u32_e64 v16, s0, s13, v6, s0
	v_cmp_lt_i32_e64 s0, 5, v23
	v_cmp_eq_u32_e64 s1, 3, v23
	v_lshrrev_b32_e32 v18, 2, v18
	v_lshlrev_b32_e32 v17, v17, v26
	v_and_or_b32 v27, 0x8000, v1, v0
	v_add_nc_u32_e32 v23, 0xfffffc10, v24
	s_or_b32 s0, s1, s0
	v_mul_f64_e32 v[0:1], s[10:11], v[11:12]
	s_wait_alu 0xfffe
	v_add_co_ci_u32_e64 v11, s0, 0, v18, s0
	v_cmp_ne_u32_e64 s2, v17, v25
	v_cmp_ne_u32_e64 s0, 0, v7
	s_wait_alu 0xf1ff
	s_delay_alu instid0(VALU_DEP_2) | instskip(NEXT) | instid1(VALU_DEP_2)
	v_cndmask_b32_e64 v17, 0, 1, s2
	v_cndmask_b32_e64 v7, 0, 1, s0
	v_cmp_gt_i32_e64 s0, 31, v22
	v_and_or_b32 v9, 0x1ff, v10, v9
	s_delay_alu instid0(VALU_DEP_4)
	v_or_b32_e32 v12, v26, v17
	v_lshl_or_b32 v17, v23, 12, v2
	s_wait_alu 0xf1ff
	v_cndmask_b32_e64 v11, 0x7c00, v11, s0
	v_cmp_gt_i32_e64 s0, 1, v23
	v_lshl_or_b32 v7, v7, 9, 0x7c00
	s_wait_alu 0xf1ff
	s_delay_alu instid0(VALU_DEP_2) | instskip(SKIP_3) | instid1(VALU_DEP_4)
	v_cndmask_b32_e64 v12, v17, v12, s0
	v_cmp_eq_u32_e64 s0, 0x40f, v22
	v_lshrrev_b32_e32 v17, 16, v8
	v_lshrrev_b32_e32 v22, 8, v10
	v_and_b32_e32 v18, 7, v12
	s_wait_alu 0xf1ff
	v_cndmask_b32_e64 v11, v11, v7, s0
	v_cmp_ne_u32_e64 s0, 0, v9
	v_mul_f64_e32 v[7:8], s[10:11], v[13:14]
	v_bfe_u32 v13, v10, 20, 11
	v_cmp_eq_u32_e64 s1, 3, v18
	v_lshrrev_b32_e32 v12, 2, v12
	s_wait_alu 0xf1ff
	v_cndmask_b32_e64 v9, 0, 1, s0
	v_cmp_lt_i32_e64 s0, 5, v18
	v_and_or_b32 v11, 0x8000, v17, v11
	v_and_b32_e32 v14, 0xffff, v27
	v_sub_nc_u32_e32 v17, 0x3f1, v13
	v_and_or_b32 v9, 0xffe, v22, v9
	s_or_b32 s0, s1, s0
	v_and_or_b32 v0, 0x1ff, v1, v0
	s_wait_alu 0xfffe
	v_add_co_ci_u32_e64 v12, s0, 0, v12, s0
	v_lshl_or_b32 v11, v11, 16, v14
	v_or_b32_e32 v14, 0x1000, v9
	v_med3_i32 v17, v17, 0, 13
	v_cmp_ne_u32_e64 s0, 0, v2
	v_lshrrev_b32_e32 v22, 8, v1
	v_bfe_u32 v24, v1, 20, 11
	v_add_nc_u32_e32 v13, 0xfffffc10, v13
	v_lshrrev_b32_e32 v18, v17, v14
	s_wait_alu 0xf1ff
	v_cndmask_b32_e64 v2, 0, 1, s0
	v_cmp_gt_i32_e64 s0, 31, v23
	v_lshrrev_b32_e32 v10, 16, v10
	v_lshrrev_b32_e32 v1, 16, v1
	v_lshlrev_b32_e32 v17, v17, v18
	v_lshl_or_b32 v2, v2, 9, 0x7c00
	s_wait_alu 0xf1ff
	v_cndmask_b32_e64 v12, 0x7c00, v12, s0
	v_cmp_ne_u32_e64 s0, 0, v0
	s_wait_alu 0xf1ff
	s_delay_alu instid0(VALU_DEP_1) | instskip(SKIP_3) | instid1(VALU_DEP_4)
	v_cndmask_b32_e64 v0, 0, 1, s0
	v_cmp_ne_u32_e64 s0, v17, v14
	v_sub_nc_u32_e32 v17, 0x3f1, v24
	v_and_or_b32 v7, 0x1ff, v8, v7
	v_and_or_b32 v0, 0xffe, v22, v0
	s_wait_alu 0xf1ff
	v_cndmask_b32_e64 v14, 0, 1, s0
	v_cmp_eq_u32_e64 s0, 0x40f, v23
	v_med3_i32 v17, v17, 0, 13
	v_lshrrev_b32_e32 v22, 8, v8
	v_bfe_u32 v23, v8, 20, 11
	s_wait_alu 0xf1ff
	v_cndmask_b32_e64 v2, v12, v2, s0
	v_or_b32_e32 v12, v18, v14
	v_lshl_or_b32 v14, v13, 12, v9
	v_or_b32_e32 v18, 0x1000, v0
	v_cmp_gt_i32_e64 s0, 1, v13
	v_and_or_b32 v2, 0x8000, v3, v2
	s_wait_alu 0xf1ff
	s_delay_alu instid0(VALU_DEP_2) | instskip(SKIP_2) | instid1(VALU_DEP_3)
	v_cndmask_b32_e64 v12, v14, v12, s0
	v_lshrrev_b32_e32 v14, v17, v18
	v_cmp_ne_u32_e64 s0, 0, v7
	v_and_b32_e32 v25, 7, v12
	s_delay_alu instid0(VALU_DEP_3) | instskip(SKIP_1) | instid1(VALU_DEP_3)
	v_lshlrev_b32_e32 v17, v17, v14
	s_wait_alu 0xf1ff
	v_cndmask_b32_e64 v7, 0, 1, s0
	v_lshrrev_b32_e32 v12, 2, v12
	v_cmp_lt_i32_e64 s0, 5, v25
	v_cmp_ne_u32_e64 s1, v17, v18
	s_delay_alu instid0(VALU_DEP_4)
	v_and_or_b32 v3, 0xffe, v22, v7
	v_sub_nc_u32_e32 v7, 0x3f1, v23
	v_add_nc_u32_e32 v22, 0xfffffc10, v24
	s_wait_alu 0xf1ff
	v_cndmask_b32_e64 v17, 0, 1, s1
	v_cmp_eq_u32_e64 s1, 3, v25
	v_or_b32_e32 v18, 0x1000, v3
	v_med3_i32 v7, v7, 0, 13
	v_lshl_or_b32 v24, v22, 12, v0
	v_or_b32_e32 v14, v14, v17
	s_or_b32 s0, s1, s0
	s_wait_alu 0xfffe
	v_add_co_ci_u32_e64 v12, s0, 0, v12, s0
	v_lshrrev_b32_e32 v17, v7, v18
	v_cmp_gt_i32_e64 s0, 1, v22
	s_delay_alu instid0(VALU_DEP_2) | instskip(SKIP_1) | instid1(VALU_DEP_2)
	v_lshlrev_b32_e32 v7, v7, v17
	s_wait_alu 0xf1ff
	v_cndmask_b32_e64 v14, v24, v14, s0
	v_cmp_ne_u32_e64 s0, 0, v9
	s_wait_alu 0xf1ff
	s_delay_alu instid0(VALU_DEP_1) | instskip(SKIP_3) | instid1(VALU_DEP_4)
	v_cndmask_b32_e64 v9, 0, 1, s0
	v_cmp_ne_u32_e64 s0, v7, v18
	v_add_nc_u32_e32 v18, 0xfffffc10, v23
	v_and_b32_e32 v23, 7, v14
	v_lshl_or_b32 v9, v9, 9, 0x7c00
	s_wait_alu 0xf1ff
	v_cndmask_b32_e64 v7, 0, 1, s0
	v_cmp_gt_i32_e64 s0, 31, v13
	v_cmp_gt_i32_e64 s2, 1, v18
	v_cmp_eq_u32_e64 s1, 3, v23
	s_delay_alu instid0(VALU_DEP_4) | instskip(SKIP_4) | instid1(VALU_DEP_3)
	v_or_b32_e32 v7, v17, v7
	v_lshl_or_b32 v17, v18, 12, v3
	s_wait_alu 0xf1ff
	v_cndmask_b32_e64 v12, 0x7c00, v12, s0
	v_cmp_lt_i32_e64 s0, 5, v23
	v_cndmask_b32_e64 v7, v17, v7, s2
	v_cmp_eq_u32_e64 s2, 0x40f, v13
	s_delay_alu instid0(VALU_DEP_3) | instskip(NEXT) | instid1(VALU_DEP_2)
	s_or_b32 s0, s1, s0
	v_and_b32_e32 v13, 7, v7
	s_delay_alu instid0(VALU_DEP_2)
	v_cndmask_b32_e64 v9, v12, v9, s2
	v_lshrrev_b32_e32 v12, 2, v14
	v_lshrrev_b32_e32 v7, 2, v7
	v_cmp_gt_i32_e64 s2, 31, v22
	v_cmp_eq_u32_e64 s1, 3, v13
	v_and_or_b32 v9, 0x8000, v10, v9
	s_wait_alu 0xfffe
	v_add_co_ci_u32_e64 v12, s0, 0, v12, s0
	v_cmp_ne_u32_e64 s0, 0, v0
	v_and_b32_e32 v10, 0xffff, v2
	s_wait_alu 0xf1ff
	s_delay_alu instid0(VALU_DEP_3) | instskip(NEXT) | instid1(VALU_DEP_3)
	v_cndmask_b32_e64 v12, 0x7c00, v12, s2
	v_cndmask_b32_e64 v0, 0, 1, s0
	v_cmp_lt_i32_e64 s0, 5, v13
	v_lshl_or_b32 v9, v9, 16, v10
	s_delay_alu instid0(VALU_DEP_3) | instskip(NEXT) | instid1(VALU_DEP_3)
	v_lshl_or_b32 v0, v0, 9, 0x7c00
	s_or_b32 s0, s1, s0
	s_wait_alu 0xfffe
	v_add_co_ci_u32_e64 v7, s0, 0, v7, s0
	v_cmp_ne_u32_e64 s0, 0, v3
	s_wait_alu 0xf1ff
	s_delay_alu instid0(VALU_DEP_1) | instskip(SKIP_1) | instid1(VALU_DEP_2)
	v_cndmask_b32_e64 v3, 0, 1, s0
	v_cmp_eq_u32_e64 s0, 0x40f, v22
	v_lshl_or_b32 v3, v3, 9, 0x7c00
	s_wait_alu 0xf1ff
	s_delay_alu instid0(VALU_DEP_2) | instskip(SKIP_1) | instid1(VALU_DEP_2)
	v_cndmask_b32_e64 v0, v12, v0, s0
	v_cmp_gt_i32_e64 s0, 31, v18
	v_and_or_b32 v0, 0x8000, v1, v0
	s_wait_alu 0xf1ff
	s_delay_alu instid0(VALU_DEP_2) | instskip(SKIP_1) | instid1(VALU_DEP_3)
	v_cndmask_b32_e64 v7, 0x7c00, v7, s0
	v_cmp_eq_u32_e64 s0, 0x40f, v18
	v_and_b32_e32 v0, 0xffff, v0
	s_wait_alu 0xf1ff
	s_delay_alu instid0(VALU_DEP_2) | instskip(SKIP_4) | instid1(VALU_DEP_3)
	v_cndmask_b32_e64 v1, v7, v3, s0
	v_lshrrev_b32_e32 v7, 16, v8
	v_add_co_u32 v2, s0, v15, s4
	s_wait_alu 0xf1ff
	v_add_co_ci_u32_e64 v3, s0, s5, v16, s0
	v_and_or_b32 v1, 0x8000, v7, v1
	s_delay_alu instid0(VALU_DEP_3) | instskip(SKIP_1) | instid1(VALU_DEP_3)
	v_add_co_u32 v7, s0, v2, s12
	s_wait_alu 0xf1ff
	v_add_co_ci_u32_e64 v8, s0, s13, v3, s0
	s_delay_alu instid0(VALU_DEP_3) | instskip(NEXT) | instid1(VALU_DEP_3)
	v_lshl_or_b32 v10, v1, 16, v0
	v_add_co_u32 v0, s0, v7, s12
	s_wait_alu 0xf1ff
	s_delay_alu instid0(VALU_DEP_3)
	v_add_co_ci_u32_e64 v1, s0, s13, v8, s0
	global_store_b32 v[5:6], v19, off
	global_store_b32 v[15:16], v4, off
	;; [unrolled: 1-line block ×5, first 2 shown]
	s_and_b32 exec_lo, exec_lo, vcc_lo
	s_cbranch_execz .LBB0_31
; %bb.30:
	s_clause 0x2
	global_load_b32 v2, v[20:21], off offset:1404
	global_load_b32 v4, v[20:21], off offset:3120
	;; [unrolled: 1-line block ×3, first 2 shown]
	ds_load_b32 v3, v45 offset:1404
	ds_load_b32 v5, v45 offset:3120
	;; [unrolled: 1-line block ×3, first 2 shown]
	v_add_co_u32 v0, vcc_lo, v0, s4
	s_wait_alu 0xfffd
	v_add_co_ci_u32_e32 v1, vcc_lo, s5, v1, vcc_lo
	s_wait_dscnt 0x2
	v_lshrrev_b32_e32 v7, 16, v3
	s_wait_dscnt 0x1
	v_lshrrev_b32_e32 v11, 16, v5
	s_wait_dscnt 0x0
	v_lshrrev_b32_e32 v13, 16, v6
	s_wait_loadcnt 0x2
	v_lshrrev_b32_e32 v9, 16, v2
	s_wait_loadcnt 0x1
	v_lshrrev_b32_e32 v12, 16, v4
	s_delay_alu instid0(VALU_DEP_2) | instskip(SKIP_1) | instid1(VALU_DEP_3)
	v_mul_f16_e32 v10, v7, v9
	v_mul_f16_e32 v9, v3, v9
	;; [unrolled: 1-line block ×3, first 2 shown]
	s_delay_alu instid0(VALU_DEP_3) | instskip(NEXT) | instid1(VALU_DEP_3)
	v_fmac_f16_e32 v10, v3, v2
	v_fma_f16 v2, v2, v7, -v9
	s_wait_loadcnt 0x0
	v_lshrrev_b32_e32 v7, 16, v8
	v_mul_f16_e32 v9, v5, v12
	v_fmac_f16_e32 v14, v5, v4
	v_cvt_f32_f16_e32 v3, v10
	v_cvt_f32_f16_e32 v5, v2
	v_mul_f16_e32 v10, v13, v7
	v_fma_f16 v9, v4, v11, -v9
	v_cvt_f32_f16_e32 v11, v14
	v_cvt_f64_f32_e32 v[2:3], v3
	v_cvt_f64_f32_e32 v[4:5], v5
	v_mul_f16_e32 v12, v6, v7
	v_fmac_f16_e32 v10, v6, v8
	v_cvt_f32_f16_e32 v9, v9
	v_cvt_f64_f32_e32 v[6:7], v11
	v_add_co_u32 v14, vcc_lo, v0, s12
	v_fma_f16 v11, v8, v13, -v12
	v_cvt_f32_f16_e32 v10, v10
	v_cvt_f64_f32_e32 v[8:9], v9
	s_wait_alu 0xfffd
	v_add_co_ci_u32_e32 v15, vcc_lo, s13, v1, vcc_lo
	v_cvt_f32_f16_e32 v12, v11
	v_cvt_f64_f32_e32 v[10:11], v10
	s_delay_alu instid0(VALU_DEP_2)
	v_cvt_f64_f32_e32 v[12:13], v12
	v_mul_f64_e32 v[2:3], s[10:11], v[2:3]
	v_mul_f64_e32 v[4:5], s[10:11], v[4:5]
	;; [unrolled: 1-line block ×6, first 2 shown]
	v_and_or_b32 v2, 0x1ff, v3, v2
	v_and_or_b32 v4, 0x1ff, v5, v4
	v_lshrrev_b32_e32 v16, 8, v3
	v_bfe_u32 v17, v3, 20, 11
	v_lshrrev_b32_e32 v18, 8, v5
	v_cmp_ne_u32_e32 vcc_lo, 0, v2
	v_and_or_b32 v6, 0x1ff, v7, v6
	v_bfe_u32 v19, v5, 20, 11
	v_lshrrev_b32_e32 v20, 8, v7
	v_bfe_u32 v21, v7, 20, 11
	s_wait_alu 0xfffd
	v_cndmask_b32_e64 v2, 0, 1, vcc_lo
	v_cmp_ne_u32_e32 vcc_lo, 0, v4
	v_and_or_b32 v8, 0x1ff, v9, v8
	v_bfe_u32 v23, v9, 20, 11
	v_and_or_b32 v10, 0x1ff, v11, v10
	v_and_or_b32 v2, 0xffe, v16, v2
	s_wait_alu 0xfffd
	v_cndmask_b32_e64 v4, 0, 1, vcc_lo
	v_cmp_ne_u32_e32 vcc_lo, 0, v6
	v_and_or_b32 v12, 0x1ff, v13, v12
	v_sub_nc_u32_e32 v28, 0x3f1, v17
	v_add_nc_u32_e32 v17, 0xfffffc10, v17
	v_sub_nc_u32_e32 v29, 0x3f1, v19
	s_wait_alu 0xfffd
	v_cndmask_b32_e64 v6, 0, 1, vcc_lo
	v_cmp_ne_u32_e32 vcc_lo, 0, v8
	v_and_or_b32 v4, 0xffe, v18, v4
	v_lshrrev_b32_e32 v22, 8, v9
	v_bfe_u32 v25, v11, 20, 11
	v_bfe_u32 v27, v13, 20, 11
	s_wait_alu 0xfffd
	v_cndmask_b32_e64 v8, 0, 1, vcc_lo
	v_cmp_ne_u32_e32 vcc_lo, 0, v10
	v_add_nc_u32_e32 v19, 0xfffffc10, v19
	v_sub_nc_u32_e32 v30, 0x3f1, v21
	v_sub_nc_u32_e32 v31, 0x3f1, v23
	v_med3_i32 v16, v28, 0, 13
	s_wait_alu 0xfffd
	v_cndmask_b32_e64 v10, 0, 1, vcc_lo
	v_cmp_ne_u32_e32 vcc_lo, 0, v12
	v_med3_i32 v18, v29, 0, 13
	v_and_or_b32 v6, 0xffe, v20, v6
	v_or_b32_e32 v28, 0x1000, v2
	v_lshl_or_b32 v29, v17, 12, v2
	s_wait_alu 0xfffd
	v_cndmask_b32_e64 v12, 0, 1, vcc_lo
	v_cmp_ne_u32_e32 vcc_lo, 0, v2
	v_lshrrev_b32_e32 v24, 8, v11
	v_lshrrev_b32_e32 v26, 8, v13
	v_add_nc_u32_e32 v21, 0xfffffc10, v21
	v_sub_nc_u32_e32 v32, 0x3f1, v25
	s_wait_alu 0xfffd
	v_cndmask_b32_e64 v2, 0, 1, vcc_lo
	v_cmp_ne_u32_e32 vcc_lo, 0, v4
	v_sub_nc_u32_e32 v33, 0x3f1, v27
	v_med3_i32 v20, v30, 0, 13
	v_and_or_b32 v8, 0xffe, v22, v8
	v_med3_i32 v22, v31, 0, 13
	v_or_b32_e32 v30, 0x1000, v4
	v_lshl_or_b32 v31, v19, 12, v4
	s_wait_alu 0xfffd
	v_cndmask_b32_e64 v4, 0, 1, vcc_lo
	v_cmp_ne_u32_e32 vcc_lo, 0, v6
	v_add_nc_u32_e32 v23, 0xfffffc10, v23
	v_and_or_b32 v10, 0xffe, v24, v10
	v_med3_i32 v24, v32, 0, 13
	v_and_or_b32 v12, 0xffe, v26, v12
	v_med3_i32 v26, v33, 0, 13
	v_or_b32_e32 v32, 0x1000, v6
	v_lshl_or_b32 v33, v21, 12, v6
	s_wait_alu 0xfffd
	v_cndmask_b32_e64 v6, 0, 1, vcc_lo
	v_cmp_ne_u32_e32 vcc_lo, 0, v8
	v_add_nc_u32_e32 v25, 0xfffffc10, v25
	v_or_b32_e32 v34, 0x1000, v8
	v_lshl_or_b32 v35, v23, 12, v8
	v_lshrrev_b32_e32 v40, v16, v28
	s_wait_alu 0xfffd
	v_cndmask_b32_e64 v8, 0, 1, vcc_lo
	v_cmp_ne_u32_e32 vcc_lo, 0, v10
	v_add_nc_u32_e32 v27, 0xfffffc10, v27
	v_or_b32_e32 v36, 0x1000, v10
	v_lshl_or_b32 v37, v25, 12, v10
	v_lshrrev_b32_e32 v41, v18, v30
	s_wait_alu 0xfffd
	v_cndmask_b32_e64 v10, 0, 1, vcc_lo
	v_cmp_ne_u32_e32 vcc_lo, 0, v12
	v_lshlrev_b32_e32 v16, v16, v40
	v_or_b32_e32 v38, 0x1000, v12
	v_lshl_or_b32 v39, v27, 12, v12
	v_lshrrev_b32_e32 v42, v20, v32
	s_wait_alu 0xfffd
	v_cndmask_b32_e64 v12, 0, 1, vcc_lo
	v_lshlrev_b32_e32 v18, v18, v41
	v_cmp_ne_u32_e32 vcc_lo, v16, v28
	v_lshrrev_b32_e32 v43, v22, v34
	v_lshlrev_b32_e32 v20, v20, v42
	v_lshrrev_b32_e32 v44, v24, v36
	v_lshrrev_b32_e32 v45, v26, v38
	s_wait_alu 0xfffd
	v_cndmask_b32_e64 v16, 0, 1, vcc_lo
	v_cmp_ne_u32_e32 vcc_lo, v18, v30
	v_lshlrev_b32_e32 v22, v22, v43
	v_lshlrev_b32_e32 v24, v24, v44
	;; [unrolled: 1-line block ×3, first 2 shown]
	v_or_b32_e32 v16, v40, v16
	s_wait_alu 0xfffd
	v_cndmask_b32_e64 v18, 0, 1, vcc_lo
	v_cmp_ne_u32_e32 vcc_lo, v20, v32
	v_lshl_or_b32 v2, v2, 9, 0x7c00
	v_lshl_or_b32 v4, v4, 9, 0x7c00
	;; [unrolled: 1-line block ×3, first 2 shown]
	v_or_b32_e32 v18, v41, v18
	s_wait_alu 0xfffd
	v_cndmask_b32_e64 v20, 0, 1, vcc_lo
	v_cmp_ne_u32_e32 vcc_lo, v22, v34
	v_lshl_or_b32 v8, v8, 9, 0x7c00
	v_lshl_or_b32 v10, v10, 9, 0x7c00
	v_lshrrev_b32_e32 v3, 16, v3
	v_or_b32_e32 v20, v42, v20
	s_wait_alu 0xfffd
	v_cndmask_b32_e64 v22, 0, 1, vcc_lo
	v_cmp_ne_u32_e32 vcc_lo, v24, v36
	v_lshrrev_b32_e32 v7, 16, v7
	v_lshrrev_b32_e32 v5, 16, v5
	;; [unrolled: 1-line block ×3, first 2 shown]
	v_or_b32_e32 v22, v43, v22
	s_wait_alu 0xfffd
	v_cndmask_b32_e64 v24, 0, 1, vcc_lo
	v_cmp_ne_u32_e32 vcc_lo, v26, v38
	v_lshl_or_b32 v12, v12, 9, 0x7c00
	v_lshrrev_b32_e32 v9, 16, v9
	v_lshrrev_b32_e32 v13, 16, v13
	v_or_b32_e32 v24, v44, v24
	s_wait_alu 0xfffd
	v_cndmask_b32_e64 v26, 0, 1, vcc_lo
	v_cmp_gt_i32_e32 vcc_lo, 1, v17
	s_delay_alu instid0(VALU_DEP_2) | instskip(SKIP_3) | instid1(VALU_DEP_2)
	v_or_b32_e32 v26, v45, v26
	s_wait_alu 0xfffd
	v_cndmask_b32_e32 v16, v29, v16, vcc_lo
	v_cmp_gt_i32_e32 vcc_lo, 1, v19
	v_and_b32_e32 v28, 7, v16
	s_wait_alu 0xfffd
	v_cndmask_b32_e32 v18, v31, v18, vcc_lo
	v_cmp_gt_i32_e32 vcc_lo, 1, v21
	v_lshrrev_b32_e32 v16, 2, v16
	v_cmp_eq_u32_e64 s0, 3, v28
	s_wait_alu 0xfffd
	v_cndmask_b32_e32 v20, v33, v20, vcc_lo
	v_cmp_gt_i32_e32 vcc_lo, 1, v23
	s_delay_alu instid0(VALU_DEP_2)
	v_and_b32_e32 v30, 7, v20
	s_wait_alu 0xfffd
	v_cndmask_b32_e32 v22, v35, v22, vcc_lo
	v_cmp_gt_i32_e32 vcc_lo, 1, v25
	v_lshrrev_b32_e32 v20, 2, v20
	v_cmp_lt_i32_e64 s3, 5, v30
	v_cmp_eq_u32_e64 s4, 3, v30
	s_wait_alu 0xfffd
	v_cndmask_b32_e32 v24, v37, v24, vcc_lo
	v_cmp_gt_i32_e32 vcc_lo, 1, v27
	s_delay_alu instid0(VALU_DEP_2)
	v_and_b32_e32 v32, 7, v24
	s_wait_alu 0xfffd
	v_cndmask_b32_e32 v26, v39, v26, vcc_lo
	v_cmp_lt_i32_e32 vcc_lo, 5, v28
	v_lshrrev_b32_e32 v24, 2, v24
	v_cmp_lt_i32_e64 s7, 5, v32
	v_cmp_eq_u32_e64 s8, 3, v32
	s_or_b32 vcc_lo, s0, vcc_lo
	s_wait_alu 0xfffe
	v_add_co_ci_u32_e32 v16, vcc_lo, 0, v16, vcc_lo
	v_and_b32_e32 v29, 7, v18
	v_lshrrev_b32_e32 v18, 2, v18
	s_delay_alu instid0(VALU_DEP_2) | instskip(SKIP_1) | instid1(VALU_DEP_1)
	v_cmp_lt_i32_e64 s1, 5, v29
	v_cmp_eq_u32_e64 s2, 3, v29
	s_or_b32 vcc_lo, s2, s1
	s_wait_alu 0xfffe
	v_add_co_ci_u32_e32 v18, vcc_lo, 0, v18, vcc_lo
	s_or_b32 vcc_lo, s4, s3
	s_wait_alu 0xfffe
	v_add_co_ci_u32_e32 v20, vcc_lo, 0, v20, vcc_lo
	v_and_b32_e32 v31, 7, v22
	v_lshrrev_b32_e32 v22, 2, v22
	s_delay_alu instid0(VALU_DEP_2) | instskip(SKIP_1) | instid1(VALU_DEP_1)
	v_cmp_lt_i32_e64 s5, 5, v31
	v_cmp_eq_u32_e64 s6, 3, v31
	s_or_b32 vcc_lo, s6, s5
	s_wait_alu 0xfffe
	v_add_co_ci_u32_e32 v22, vcc_lo, 0, v22, vcc_lo
	s_or_b32 vcc_lo, s8, s7
	s_wait_alu 0xfffe
	v_add_co_ci_u32_e32 v24, vcc_lo, 0, v24, vcc_lo
	v_and_b32_e32 v33, 7, v26
	v_lshrrev_b32_e32 v26, 2, v26
	s_delay_alu instid0(VALU_DEP_2) | instskip(SKIP_1) | instid1(VALU_DEP_1)
	v_cmp_lt_i32_e64 s9, 5, v33
	v_cmp_eq_u32_e64 s10, 3, v33
	s_or_b32 vcc_lo, s10, s9
	s_wait_alu 0xfffe
	v_add_co_ci_u32_e32 v26, vcc_lo, 0, v26, vcc_lo
	v_cmp_gt_i32_e32 vcc_lo, 31, v17
	s_wait_alu 0xfffd
	v_cndmask_b32_e32 v16, 0x7c00, v16, vcc_lo
	v_cmp_gt_i32_e32 vcc_lo, 31, v19
	s_wait_alu 0xfffd
	v_cndmask_b32_e32 v18, 0x7c00, v18, vcc_lo
	;; [unrolled: 3-line block ×6, first 2 shown]
	v_cmp_eq_u32_e32 vcc_lo, 0x40f, v17
	s_wait_alu 0xfffd
	v_cndmask_b32_e32 v2, v16, v2, vcc_lo
	v_cmp_eq_u32_e32 vcc_lo, 0x40f, v19
	s_delay_alu instid0(VALU_DEP_2) | instskip(SKIP_3) | instid1(VALU_DEP_2)
	v_and_or_b32 v2, 0x8000, v3, v2
	s_wait_alu 0xfffd
	v_cndmask_b32_e32 v4, v18, v4, vcc_lo
	v_cmp_eq_u32_e32 vcc_lo, 0x40f, v21
	v_and_or_b32 v4, 0x8000, v5, v4
	s_wait_alu 0xfffd
	v_cndmask_b32_e32 v6, v20, v6, vcc_lo
	v_cmp_eq_u32_e32 vcc_lo, 0x40f, v23
	s_delay_alu instid0(VALU_DEP_2) | instskip(SKIP_3) | instid1(VALU_DEP_2)
	v_and_or_b32 v3, 0x8000, v7, v6
	s_wait_alu 0xfffd
	v_cndmask_b32_e32 v8, v22, v8, vcc_lo
	v_cmp_eq_u32_e32 vcc_lo, 0x40f, v25
	v_and_or_b32 v6, 0x8000, v9, v8
	s_wait_alu 0xfffd
	v_cndmask_b32_e32 v10, v24, v10, vcc_lo
	v_cmp_eq_u32_e32 vcc_lo, 0x40f, v27
	v_and_b32_e32 v8, 0xffff, v2
	v_and_b32_e32 v9, 0xffff, v3
	s_delay_alu instid0(VALU_DEP_4)
	v_and_or_b32 v5, 0x8000, v11, v10
	s_wait_alu 0xfffd
	v_cndmask_b32_e32 v12, v26, v12, vcc_lo
	v_add_co_u32 v2, vcc_lo, v14, s12
	v_lshl_or_b32 v4, v4, 16, v8
	v_and_b32_e32 v5, 0xffff, v5
	s_delay_alu instid0(VALU_DEP_4) | instskip(SKIP_3) | instid1(VALU_DEP_3)
	v_and_or_b32 v7, 0x8000, v13, v12
	v_lshl_or_b32 v6, v6, 16, v9
	s_wait_alu 0xfffd
	v_add_co_ci_u32_e32 v3, vcc_lo, s13, v15, vcc_lo
	v_lshl_or_b32 v5, v7, 16, v5
	global_store_b32 v[0:1], v4, off
	global_store_b32 v[14:15], v6, off
	;; [unrolled: 1-line block ×3, first 2 shown]
.LBB0_31:
	s_nop 0
	s_sendmsg sendmsg(MSG_DEALLOC_VGPRS)
	s_endpgm
	.section	.rodata,"a",@progbits
	.p2align	6, 0x0
	.amdhsa_kernel bluestein_single_fwd_len1287_dim1_half_op_CI_CI
		.amdhsa_group_segment_fixed_size 5148
		.amdhsa_private_segment_fixed_size 0
		.amdhsa_kernarg_size 104
		.amdhsa_user_sgpr_count 2
		.amdhsa_user_sgpr_dispatch_ptr 0
		.amdhsa_user_sgpr_queue_ptr 0
		.amdhsa_user_sgpr_kernarg_segment_ptr 1
		.amdhsa_user_sgpr_dispatch_id 0
		.amdhsa_user_sgpr_private_segment_size 0
		.amdhsa_wavefront_size32 1
		.amdhsa_uses_dynamic_stack 0
		.amdhsa_enable_private_segment 0
		.amdhsa_system_sgpr_workgroup_id_x 1
		.amdhsa_system_sgpr_workgroup_id_y 0
		.amdhsa_system_sgpr_workgroup_id_z 0
		.amdhsa_system_sgpr_workgroup_info 0
		.amdhsa_system_vgpr_workitem_id 0
		.amdhsa_next_free_vgpr 221
		.amdhsa_next_free_sgpr 18
		.amdhsa_reserve_vcc 1
		.amdhsa_float_round_mode_32 0
		.amdhsa_float_round_mode_16_64 0
		.amdhsa_float_denorm_mode_32 3
		.amdhsa_float_denorm_mode_16_64 3
		.amdhsa_fp16_overflow 0
		.amdhsa_workgroup_processor_mode 1
		.amdhsa_memory_ordered 1
		.amdhsa_forward_progress 0
		.amdhsa_round_robin_scheduling 0
		.amdhsa_exception_fp_ieee_invalid_op 0
		.amdhsa_exception_fp_denorm_src 0
		.amdhsa_exception_fp_ieee_div_zero 0
		.amdhsa_exception_fp_ieee_overflow 0
		.amdhsa_exception_fp_ieee_underflow 0
		.amdhsa_exception_fp_ieee_inexact 0
		.amdhsa_exception_int_div_zero 0
	.end_amdhsa_kernel
	.text
.Lfunc_end0:
	.size	bluestein_single_fwd_len1287_dim1_half_op_CI_CI, .Lfunc_end0-bluestein_single_fwd_len1287_dim1_half_op_CI_CI
                                        ; -- End function
	.section	.AMDGPU.csdata,"",@progbits
; Kernel info:
; codeLenInByte = 29976
; NumSgprs: 20
; NumVgprs: 221
; ScratchSize: 0
; MemoryBound: 0
; FloatMode: 240
; IeeeMode: 1
; LDSByteSize: 5148 bytes/workgroup (compile time only)
; SGPRBlocks: 2
; VGPRBlocks: 27
; NumSGPRsForWavesPerEU: 20
; NumVGPRsForWavesPerEU: 221
; Occupancy: 6
; WaveLimiterHint : 1
; COMPUTE_PGM_RSRC2:SCRATCH_EN: 0
; COMPUTE_PGM_RSRC2:USER_SGPR: 2
; COMPUTE_PGM_RSRC2:TRAP_HANDLER: 0
; COMPUTE_PGM_RSRC2:TGID_X_EN: 1
; COMPUTE_PGM_RSRC2:TGID_Y_EN: 0
; COMPUTE_PGM_RSRC2:TGID_Z_EN: 0
; COMPUTE_PGM_RSRC2:TIDIG_COMP_CNT: 0
	.text
	.p2alignl 7, 3214868480
	.fill 96, 4, 3214868480
	.type	__hip_cuid_b0c8c80d8fbcd78a,@object ; @__hip_cuid_b0c8c80d8fbcd78a
	.section	.bss,"aw",@nobits
	.globl	__hip_cuid_b0c8c80d8fbcd78a
__hip_cuid_b0c8c80d8fbcd78a:
	.byte	0                               ; 0x0
	.size	__hip_cuid_b0c8c80d8fbcd78a, 1

	.ident	"AMD clang version 19.0.0git (https://github.com/RadeonOpenCompute/llvm-project roc-6.4.0 25133 c7fe45cf4b819c5991fe208aaa96edf142730f1d)"
	.section	".note.GNU-stack","",@progbits
	.addrsig
	.addrsig_sym __hip_cuid_b0c8c80d8fbcd78a
	.amdgpu_metadata
---
amdhsa.kernels:
  - .args:
      - .actual_access:  read_only
        .address_space:  global
        .offset:         0
        .size:           8
        .value_kind:     global_buffer
      - .actual_access:  read_only
        .address_space:  global
        .offset:         8
        .size:           8
        .value_kind:     global_buffer
      - .actual_access:  read_only
        .address_space:  global
        .offset:         16
        .size:           8
        .value_kind:     global_buffer
      - .actual_access:  read_only
        .address_space:  global
        .offset:         24
        .size:           8
        .value_kind:     global_buffer
      - .actual_access:  read_only
        .address_space:  global
        .offset:         32
        .size:           8
        .value_kind:     global_buffer
      - .offset:         40
        .size:           8
        .value_kind:     by_value
      - .address_space:  global
        .offset:         48
        .size:           8
        .value_kind:     global_buffer
      - .address_space:  global
        .offset:         56
        .size:           8
        .value_kind:     global_buffer
      - .address_space:  global
        .offset:         64
        .size:           8
        .value_kind:     global_buffer
      - .address_space:  global
        .offset:         72
        .size:           8
        .value_kind:     global_buffer
      - .offset:         80
        .size:           4
        .value_kind:     by_value
      - .address_space:  global
        .offset:         88
        .size:           8
        .value_kind:     global_buffer
      - .address_space:  global
        .offset:         96
        .size:           8
        .value_kind:     global_buffer
    .group_segment_fixed_size: 5148
    .kernarg_segment_align: 8
    .kernarg_segment_size: 104
    .language:       OpenCL C
    .language_version:
      - 2
      - 0
    .max_flat_workgroup_size: 117
    .name:           bluestein_single_fwd_len1287_dim1_half_op_CI_CI
    .private_segment_fixed_size: 0
    .sgpr_count:     20
    .sgpr_spill_count: 0
    .symbol:         bluestein_single_fwd_len1287_dim1_half_op_CI_CI.kd
    .uniform_work_group_size: 1
    .uses_dynamic_stack: false
    .vgpr_count:     221
    .vgpr_spill_count: 0
    .wavefront_size: 32
    .workgroup_processor_mode: 1
amdhsa.target:   amdgcn-amd-amdhsa--gfx1201
amdhsa.version:
  - 1
  - 2
...

	.end_amdgpu_metadata
